;; amdgpu-corpus repo=ROCm/rocFFT kind=compiled arch=gfx1201 opt=O3
	.text
	.amdgcn_target "amdgcn-amd-amdhsa--gfx1201"
	.amdhsa_code_object_version 6
	.protected	fft_rtc_back_len1200_factors_5_5_16_3_wgs_225_tpt_75_halfLds_dp_ip_CI_unitstride_sbrr_dirReg ; -- Begin function fft_rtc_back_len1200_factors_5_5_16_3_wgs_225_tpt_75_halfLds_dp_ip_CI_unitstride_sbrr_dirReg
	.globl	fft_rtc_back_len1200_factors_5_5_16_3_wgs_225_tpt_75_halfLds_dp_ip_CI_unitstride_sbrr_dirReg
	.p2align	8
	.type	fft_rtc_back_len1200_factors_5_5_16_3_wgs_225_tpt_75_halfLds_dp_ip_CI_unitstride_sbrr_dirReg,@function
fft_rtc_back_len1200_factors_5_5_16_3_wgs_225_tpt_75_halfLds_dp_ip_CI_unitstride_sbrr_dirReg: ; @fft_rtc_back_len1200_factors_5_5_16_3_wgs_225_tpt_75_halfLds_dp_ip_CI_unitstride_sbrr_dirReg
; %bb.0:
	s_load_b128 s[4:7], s[0:1], 0x0
	v_mul_u32_u24_e32 v1, 0x36a, v0
	s_clause 0x1
	s_load_b64 s[8:9], s[0:1], 0x50
	s_load_b64 s[10:11], s[0:1], 0x18
	v_mov_b32_e32 v3, 0
	v_lshrrev_b32_e32 v1, 16, v1
	s_delay_alu instid0(VALU_DEP_1) | instskip(SKIP_1) | instid1(VALU_DEP_4)
	v_mad_co_u64_u32 v[40:41], null, ttmp9, 3, v[1:2]
	v_mov_b32_e32 v1, 0
	v_dual_mov_b32 v2, 0 :: v_dual_mov_b32 v41, v3
	s_delay_alu instid0(VALU_DEP_1) | instskip(SKIP_2) | instid1(VALU_DEP_1)
	v_dual_mov_b32 v7, v40 :: v_dual_mov_b32 v8, v41
	s_wait_kmcnt 0x0
	v_cmp_lt_u64_e64 s2, s[6:7], 2
	s_and_b32 vcc_lo, exec_lo, s2
	s_cbranch_vccnz .LBB0_8
; %bb.1:
	s_load_b64 s[2:3], s[0:1], 0x10
	v_mov_b32_e32 v1, 0
	v_dual_mov_b32 v2, 0 :: v_dual_mov_b32 v5, v40
	v_mov_b32_e32 v6, v41
	s_add_nc_u64 s[12:13], s[10:11], 8
	s_mov_b64 s[14:15], 1
	s_wait_kmcnt 0x0
	s_add_nc_u64 s[16:17], s[2:3], 8
	s_mov_b32 s3, 0
.LBB0_2:                                ; =>This Inner Loop Header: Depth=1
	s_load_b64 s[18:19], s[16:17], 0x0
                                        ; implicit-def: $vgpr7_vgpr8
	s_mov_b32 s2, exec_lo
	s_wait_kmcnt 0x0
	v_or_b32_e32 v4, s19, v6
	s_delay_alu instid0(VALU_DEP_1)
	v_cmpx_ne_u64_e32 0, v[3:4]
	s_wait_alu 0xfffe
	s_xor_b32 s20, exec_lo, s2
	s_cbranch_execz .LBB0_4
; %bb.3:                                ;   in Loop: Header=BB0_2 Depth=1
	s_cvt_f32_u32 s2, s18
	s_cvt_f32_u32 s21, s19
	s_sub_nc_u64 s[24:25], 0, s[18:19]
	s_wait_alu 0xfffe
	s_delay_alu instid0(SALU_CYCLE_1) | instskip(SKIP_1) | instid1(SALU_CYCLE_2)
	s_fmamk_f32 s2, s21, 0x4f800000, s2
	s_wait_alu 0xfffe
	v_s_rcp_f32 s2, s2
	s_delay_alu instid0(TRANS32_DEP_1) | instskip(SKIP_1) | instid1(SALU_CYCLE_2)
	s_mul_f32 s2, s2, 0x5f7ffffc
	s_wait_alu 0xfffe
	s_mul_f32 s21, s2, 0x2f800000
	s_wait_alu 0xfffe
	s_delay_alu instid0(SALU_CYCLE_2) | instskip(SKIP_1) | instid1(SALU_CYCLE_2)
	s_trunc_f32 s21, s21
	s_wait_alu 0xfffe
	s_fmamk_f32 s2, s21, 0xcf800000, s2
	s_cvt_u32_f32 s23, s21
	s_wait_alu 0xfffe
	s_delay_alu instid0(SALU_CYCLE_1) | instskip(SKIP_1) | instid1(SALU_CYCLE_2)
	s_cvt_u32_f32 s22, s2
	s_wait_alu 0xfffe
	s_mul_u64 s[26:27], s[24:25], s[22:23]
	s_wait_alu 0xfffe
	s_mul_hi_u32 s29, s22, s27
	s_mul_i32 s28, s22, s27
	s_mul_hi_u32 s2, s22, s26
	s_mul_i32 s30, s23, s26
	s_wait_alu 0xfffe
	s_add_nc_u64 s[28:29], s[2:3], s[28:29]
	s_mul_hi_u32 s21, s23, s26
	s_mul_hi_u32 s31, s23, s27
	s_add_co_u32 s2, s28, s30
	s_wait_alu 0xfffe
	s_add_co_ci_u32 s2, s29, s21
	s_mul_i32 s26, s23, s27
	s_add_co_ci_u32 s27, s31, 0
	s_wait_alu 0xfffe
	s_add_nc_u64 s[26:27], s[2:3], s[26:27]
	s_wait_alu 0xfffe
	v_add_co_u32 v4, s2, s22, s26
	s_delay_alu instid0(VALU_DEP_1) | instskip(SKIP_1) | instid1(VALU_DEP_1)
	s_cmp_lg_u32 s2, 0
	s_add_co_ci_u32 s23, s23, s27
	v_readfirstlane_b32 s22, v4
	s_wait_alu 0xfffe
	s_delay_alu instid0(VALU_DEP_1)
	s_mul_u64 s[24:25], s[24:25], s[22:23]
	s_wait_alu 0xfffe
	s_mul_hi_u32 s27, s22, s25
	s_mul_i32 s26, s22, s25
	s_mul_hi_u32 s2, s22, s24
	s_mul_i32 s28, s23, s24
	s_wait_alu 0xfffe
	s_add_nc_u64 s[26:27], s[2:3], s[26:27]
	s_mul_hi_u32 s21, s23, s24
	s_mul_hi_u32 s22, s23, s25
	s_wait_alu 0xfffe
	s_add_co_u32 s2, s26, s28
	s_add_co_ci_u32 s2, s27, s21
	s_mul_i32 s24, s23, s25
	s_add_co_ci_u32 s25, s22, 0
	s_wait_alu 0xfffe
	s_add_nc_u64 s[24:25], s[2:3], s[24:25]
	s_wait_alu 0xfffe
	v_add_co_u32 v4, s2, v4, s24
	s_delay_alu instid0(VALU_DEP_1) | instskip(SKIP_1) | instid1(VALU_DEP_1)
	s_cmp_lg_u32 s2, 0
	s_add_co_ci_u32 s2, s23, s25
	v_mul_hi_u32 v13, v5, v4
	s_wait_alu 0xfffe
	v_mad_co_u64_u32 v[7:8], null, v5, s2, 0
	v_mad_co_u64_u32 v[9:10], null, v6, v4, 0
	;; [unrolled: 1-line block ×3, first 2 shown]
	s_delay_alu instid0(VALU_DEP_3) | instskip(SKIP_1) | instid1(VALU_DEP_4)
	v_add_co_u32 v4, vcc_lo, v13, v7
	s_wait_alu 0xfffd
	v_add_co_ci_u32_e32 v7, vcc_lo, 0, v8, vcc_lo
	s_delay_alu instid0(VALU_DEP_2) | instskip(SKIP_1) | instid1(VALU_DEP_2)
	v_add_co_u32 v4, vcc_lo, v4, v9
	s_wait_alu 0xfffd
	v_add_co_ci_u32_e32 v4, vcc_lo, v7, v10, vcc_lo
	s_wait_alu 0xfffd
	v_add_co_ci_u32_e32 v7, vcc_lo, 0, v12, vcc_lo
	s_delay_alu instid0(VALU_DEP_2) | instskip(SKIP_1) | instid1(VALU_DEP_2)
	v_add_co_u32 v4, vcc_lo, v4, v11
	s_wait_alu 0xfffd
	v_add_co_ci_u32_e32 v9, vcc_lo, 0, v7, vcc_lo
	s_delay_alu instid0(VALU_DEP_2) | instskip(SKIP_1) | instid1(VALU_DEP_3)
	v_mul_lo_u32 v10, s19, v4
	v_mad_co_u64_u32 v[7:8], null, s18, v4, 0
	v_mul_lo_u32 v11, s18, v9
	s_delay_alu instid0(VALU_DEP_2) | instskip(NEXT) | instid1(VALU_DEP_2)
	v_sub_co_u32 v7, vcc_lo, v5, v7
	v_add3_u32 v8, v8, v11, v10
	s_delay_alu instid0(VALU_DEP_1) | instskip(SKIP_1) | instid1(VALU_DEP_1)
	v_sub_nc_u32_e32 v10, v6, v8
	s_wait_alu 0xfffd
	v_subrev_co_ci_u32_e64 v10, s2, s19, v10, vcc_lo
	v_add_co_u32 v11, s2, v4, 2
	s_wait_alu 0xf1ff
	v_add_co_ci_u32_e64 v12, s2, 0, v9, s2
	v_sub_co_u32 v13, s2, v7, s18
	v_sub_co_ci_u32_e32 v8, vcc_lo, v6, v8, vcc_lo
	s_wait_alu 0xf1ff
	v_subrev_co_ci_u32_e64 v10, s2, 0, v10, s2
	s_delay_alu instid0(VALU_DEP_3) | instskip(NEXT) | instid1(VALU_DEP_3)
	v_cmp_le_u32_e32 vcc_lo, s18, v13
	v_cmp_eq_u32_e64 s2, s19, v8
	s_wait_alu 0xfffd
	v_cndmask_b32_e64 v13, 0, -1, vcc_lo
	v_cmp_le_u32_e32 vcc_lo, s19, v10
	s_wait_alu 0xfffd
	v_cndmask_b32_e64 v14, 0, -1, vcc_lo
	v_cmp_le_u32_e32 vcc_lo, s18, v7
	;; [unrolled: 3-line block ×3, first 2 shown]
	s_wait_alu 0xfffd
	v_cndmask_b32_e64 v15, 0, -1, vcc_lo
	v_cmp_eq_u32_e32 vcc_lo, s19, v10
	s_wait_alu 0xf1ff
	s_delay_alu instid0(VALU_DEP_2)
	v_cndmask_b32_e64 v7, v15, v7, s2
	s_wait_alu 0xfffd
	v_cndmask_b32_e32 v10, v14, v13, vcc_lo
	v_add_co_u32 v13, vcc_lo, v4, 1
	s_wait_alu 0xfffd
	v_add_co_ci_u32_e32 v14, vcc_lo, 0, v9, vcc_lo
	s_delay_alu instid0(VALU_DEP_3) | instskip(SKIP_2) | instid1(VALU_DEP_3)
	v_cmp_ne_u32_e32 vcc_lo, 0, v10
	s_wait_alu 0xfffd
	v_cndmask_b32_e32 v10, v13, v11, vcc_lo
	v_cndmask_b32_e32 v8, v14, v12, vcc_lo
	v_cmp_ne_u32_e32 vcc_lo, 0, v7
	s_wait_alu 0xfffd
	s_delay_alu instid0(VALU_DEP_2)
	v_dual_cndmask_b32 v7, v4, v10 :: v_dual_cndmask_b32 v8, v9, v8
.LBB0_4:                                ;   in Loop: Header=BB0_2 Depth=1
	s_wait_alu 0xfffe
	s_and_not1_saveexec_b32 s2, s20
	s_cbranch_execz .LBB0_6
; %bb.5:                                ;   in Loop: Header=BB0_2 Depth=1
	v_cvt_f32_u32_e32 v4, s18
	s_sub_co_i32 s20, 0, s18
	s_delay_alu instid0(VALU_DEP_1) | instskip(NEXT) | instid1(TRANS32_DEP_1)
	v_rcp_iflag_f32_e32 v4, v4
	v_mul_f32_e32 v4, 0x4f7ffffe, v4
	s_delay_alu instid0(VALU_DEP_1) | instskip(SKIP_1) | instid1(VALU_DEP_1)
	v_cvt_u32_f32_e32 v4, v4
	s_wait_alu 0xfffe
	v_mul_lo_u32 v7, s20, v4
	s_delay_alu instid0(VALU_DEP_1) | instskip(NEXT) | instid1(VALU_DEP_1)
	v_mul_hi_u32 v7, v4, v7
	v_add_nc_u32_e32 v4, v4, v7
	s_delay_alu instid0(VALU_DEP_1) | instskip(NEXT) | instid1(VALU_DEP_1)
	v_mul_hi_u32 v4, v5, v4
	v_mul_lo_u32 v7, v4, s18
	v_add_nc_u32_e32 v8, 1, v4
	s_delay_alu instid0(VALU_DEP_2) | instskip(NEXT) | instid1(VALU_DEP_1)
	v_sub_nc_u32_e32 v7, v5, v7
	v_subrev_nc_u32_e32 v9, s18, v7
	v_cmp_le_u32_e32 vcc_lo, s18, v7
	s_wait_alu 0xfffd
	s_delay_alu instid0(VALU_DEP_2) | instskip(NEXT) | instid1(VALU_DEP_1)
	v_dual_cndmask_b32 v7, v7, v9 :: v_dual_cndmask_b32 v4, v4, v8
	v_cmp_le_u32_e32 vcc_lo, s18, v7
	s_delay_alu instid0(VALU_DEP_2) | instskip(SKIP_1) | instid1(VALU_DEP_1)
	v_add_nc_u32_e32 v8, 1, v4
	s_wait_alu 0xfffd
	v_dual_cndmask_b32 v7, v4, v8 :: v_dual_mov_b32 v8, v3
.LBB0_6:                                ;   in Loop: Header=BB0_2 Depth=1
	s_wait_alu 0xfffe
	s_or_b32 exec_lo, exec_lo, s2
	s_load_b64 s[20:21], s[12:13], 0x0
	s_delay_alu instid0(VALU_DEP_1)
	v_mul_lo_u32 v4, v8, s18
	v_mul_lo_u32 v11, v7, s19
	v_mad_co_u64_u32 v[9:10], null, v7, s18, 0
	s_add_nc_u64 s[14:15], s[14:15], 1
	s_add_nc_u64 s[12:13], s[12:13], 8
	s_wait_alu 0xfffe
	v_cmp_ge_u64_e64 s2, s[14:15], s[6:7]
	s_add_nc_u64 s[16:17], s[16:17], 8
	s_delay_alu instid0(VALU_DEP_2) | instskip(NEXT) | instid1(VALU_DEP_3)
	v_add3_u32 v4, v10, v11, v4
	v_sub_co_u32 v5, vcc_lo, v5, v9
	s_wait_alu 0xfffd
	s_delay_alu instid0(VALU_DEP_2) | instskip(SKIP_3) | instid1(VALU_DEP_2)
	v_sub_co_ci_u32_e32 v4, vcc_lo, v6, v4, vcc_lo
	s_and_b32 vcc_lo, exec_lo, s2
	s_wait_kmcnt 0x0
	v_mul_lo_u32 v6, s21, v5
	v_mul_lo_u32 v4, s20, v4
	v_mad_co_u64_u32 v[1:2], null, s20, v5, v[1:2]
	s_delay_alu instid0(VALU_DEP_1)
	v_add3_u32 v2, v6, v2, v4
	s_wait_alu 0xfffe
	s_cbranch_vccnz .LBB0_8
; %bb.7:                                ;   in Loop: Header=BB0_2 Depth=1
	v_dual_mov_b32 v5, v7 :: v_dual_mov_b32 v6, v8
	s_branch .LBB0_2
.LBB0_8:
	s_lshl_b64 s[2:3], s[6:7], 3
	v_mul_hi_u32 v5, 0x369d037, v0
	s_wait_alu 0xfffe
	s_add_nc_u64 s[2:3], s[10:11], s[2:3]
                                        ; implicit-def: $vgpr46_vgpr47
                                        ; implicit-def: $vgpr14_vgpr15
                                        ; implicit-def: $vgpr18_vgpr19
                                        ; implicit-def: $vgpr38_vgpr39
                                        ; implicit-def: $vgpr30_vgpr31
                                        ; implicit-def: $vgpr26_vgpr27
                                        ; implicit-def: $vgpr62_vgpr63
                                        ; implicit-def: $vgpr58_vgpr59
                                        ; implicit-def: $vgpr54_vgpr55
                                        ; implicit-def: $vgpr34_vgpr35
                                        ; implicit-def: $vgpr22_vgpr23
                                        ; implicit-def: $vgpr66_vgpr67
                                        ; implicit-def: $vgpr74_vgpr75
                                        ; implicit-def: $vgpr82_vgpr83
                                        ; implicit-def: $vgpr78_vgpr79
                                        ; implicit-def: $vgpr86_vgpr87
                                        ; implicit-def: $vgpr10_vgpr11
                                        ; implicit-def: $vgpr70_vgpr71
                                        ; implicit-def: $vgpr50_vgpr51
	s_load_b64 s[2:3], s[2:3], 0x0
	s_load_b64 s[0:1], s[0:1], 0x20
	s_wait_kmcnt 0x0
	v_mul_lo_u32 v3, s2, v8
	v_mul_lo_u32 v4, s3, v7
	v_mad_co_u64_u32 v[1:2], null, s2, v7, v[1:2]
	v_cmp_gt_u64_e32 vcc_lo, s[0:1], v[7:8]
                                        ; implicit-def: $vgpr6_vgpr7
	s_delay_alu instid0(VALU_DEP_2) | instskip(SKIP_1) | instid1(VALU_DEP_2)
	v_add3_u32 v2, v4, v2, v3
	v_mul_u32_u24_e32 v3, 0x4b, v5
	v_lshlrev_b64_e32 v[118:119], 4, v[1:2]
	s_delay_alu instid0(VALU_DEP_2)
	v_sub_nc_u32_e32 v116, v0, v3
	s_and_saveexec_b32 s1, vcc_lo
	s_cbranch_execz .LBB0_12
; %bb.9:
	v_mov_b32_e32 v117, 0
	s_delay_alu instid0(VALU_DEP_3) | instskip(SKIP_2) | instid1(VALU_DEP_3)
	v_add_co_u32 v2, s0, s8, v118
	s_wait_alu 0xf1ff
	v_add_co_ci_u32_e64 v3, s0, s9, v119, s0
	v_lshlrev_b64_e32 v[0:1], 4, v[116:117]
	s_mov_b32 s2, exec_lo
                                        ; implicit-def: $vgpr84_vgpr85
                                        ; implicit-def: $vgpr76_vgpr77
                                        ; implicit-def: $vgpr80_vgpr81
                                        ; implicit-def: $vgpr72_vgpr73
                                        ; implicit-def: $vgpr64_vgpr65
	s_delay_alu instid0(VALU_DEP_1) | instskip(SKIP_1) | instid1(VALU_DEP_2)
	v_add_co_u32 v0, s0, v2, v0
	s_wait_alu 0xf1ff
	v_add_co_ci_u32_e64 v1, s0, v3, v1, s0
	s_clause 0xe
	global_load_b128 v[48:51], v[0:1], off
	global_load_b128 v[36:39], v[0:1], off offset:1200
	global_load_b128 v[12:15], v[0:1], off offset:7680
	;; [unrolled: 1-line block ×14, first 2 shown]
	v_cmpx_gt_u32_e32 15, v116
; %bb.10:
	s_clause 0x4
	global_load_b128 v[84:87], v[0:1], off offset:3600
	global_load_b128 v[76:79], v[0:1], off offset:7440
	global_load_b128 v[80:83], v[0:1], off offset:11280
	global_load_b128 v[72:75], v[0:1], off offset:15120
	global_load_b128 v[64:67], v[0:1], off offset:18960
; %bb.11:
	s_wait_alu 0xfffe
	s_or_b32 exec_lo, exec_lo, s2
.LBB0_12:
	s_wait_alu 0xfffe
	s_or_b32 exec_lo, exec_lo, s1
	s_wait_loadcnt 0x6
	v_add_f64_e32 v[0:1], v[8:9], v[68:69]
	s_wait_loadcnt 0x0
	v_add_f64_e32 v[2:3], v[64:65], v[76:77]
	v_add_f64_e32 v[41:42], v[44:45], v[4:5]
	;; [unrolled: 1-line block ×7, first 2 shown]
	v_add_f64_e64 v[98:99], v[30:31], -v[26:27]
	v_add_f64_e64 v[100:101], v[28:29], -v[68:69]
	;; [unrolled: 1-line block ×10, first 2 shown]
	v_add_f64_e32 v[126:127], v[44:45], v[48:49]
	v_add_f64_e32 v[128:129], v[36:37], v[68:69]
	;; [unrolled: 1-line block ×4, first 2 shown]
	v_add_f64_e64 v[134:135], v[46:47], -v[6:7]
	v_add_f64_e64 v[138:139], v[54:55], -v[34:35]
	;; [unrolled: 1-line block ×5, first 2 shown]
	s_mov_b32 s0, 0x134454ff
	s_mov_b32 s1, 0xbfee6f0e
	;; [unrolled: 1-line block ×3, first 2 shown]
	s_wait_alu 0xfffe
	s_mov_b32 s2, s0
	v_add_f64_e64 v[140:141], v[20:21], -v[32:33]
	v_add_f64_e64 v[142:143], v[52:53], -v[56:57]
	;; [unrolled: 1-line block ×5, first 2 shown]
	v_fma_f64 v[0:1], v[0:1], -0.5, v[36:37]
	v_fma_f64 v[2:3], v[2:3], -0.5, v[84:85]
	;; [unrolled: 1-line block ×7, first 2 shown]
	v_add_f64_e64 v[90:91], v[78:79], -v[66:67]
	v_fma_f64 v[84:85], v[96:97], -0.5, v[84:85]
	v_add_f64_e64 v[92:93], v[68:69], -v[28:29]
	v_add_f64_e64 v[94:95], v[8:9], -v[24:25]
	;; [unrolled: 1-line block ×3, first 2 shown]
	v_add_f64_e32 v[100:101], v[102:103], v[100:101]
	v_add_f64_e32 v[102:103], v[108:109], v[106:107]
	;; [unrolled: 1-line block ×8, first 2 shown]
	s_wait_alu 0xfffe
	v_fma_f64 v[126:127], v[98:99], s[2:3], v[0:1]
	v_fma_f64 v[0:1], v[98:99], s[0:1], v[0:1]
	v_fma_f64 v[128:129], v[110:111], s[2:3], v[2:3]
	v_fma_f64 v[2:3], v[110:111], s[0:1], v[2:3]
	v_fma_f64 v[132:133], v[134:135], s[0:1], v[48:49]
	v_fma_f64 v[48:49], v[134:135], s[2:3], v[48:49]
	v_fma_f64 v[154:155], v[138:139], s[2:3], v[60:61]
	v_fma_f64 v[60:61], v[138:139], s[0:1], v[60:61]
	v_fma_f64 v[156:157], v[90:91], s[0:1], v[84:85]
	v_fma_f64 v[84:85], v[90:91], s[2:3], v[84:85]
	v_fma_f64 v[130:131], v[124:125], s[2:3], v[41:42]
	v_fma_f64 v[41:42], v[124:125], s[0:1], v[41:42]
	v_fma_f64 v[150:151], v[104:105], s[0:1], v[36:37]
	v_fma_f64 v[152:153], v[136:137], s[0:1], v[88:89]
	v_fma_f64 v[36:37], v[104:105], s[2:3], v[36:37]
	v_fma_f64 v[88:89], v[136:137], s[2:3], v[88:89]
	s_mov_b32 s0, 0x4755a5e
	s_mov_b32 s1, 0xbfe2cf23
	;; [unrolled: 1-line block ×3, first 2 shown]
	s_wait_alu 0xfffe
	s_mov_b32 s2, s0
	v_add_f64_e32 v[92:93], v[94:95], v[92:93]
	v_add_f64_e32 v[94:95], v[96:97], v[140:141]
	;; [unrolled: 1-line block ×8, first 2 shown]
	v_fma_f64 v[126:127], v[104:105], s[0:1], v[126:127]
	s_wait_alu 0xfffe
	v_fma_f64 v[104:105], v[104:105], s[2:3], v[0:1]
	v_fma_f64 v[128:129], v[90:91], s[0:1], v[128:129]
	;; [unrolled: 1-line block ×15, first 2 shown]
	v_mul_hi_u32 v0, 0xaaaaaaab, v40
	s_mov_b32 s0, 0x372fe950
	s_mov_b32 s1, 0x3fd3c6ef
	s_delay_alu instid0(VALU_DEP_1) | instskip(SKIP_3) | instid1(VALU_DEP_4)
	v_lshrrev_b32_e32 v0, 1, v0
	v_add_f64_e32 v[110:111], v[4:5], v[112:113]
	v_add_f64_e32 v[112:113], v[8:9], v[114:115]
	;; [unrolled: 1-line block ×3, first 2 shown]
	v_lshl_add_u32 v117, v0, 1, v0
	v_add_f64_e32 v[0:1], v[64:65], v[122:123]
	s_wait_alu 0xfffe
	v_fma_f64 v[120:121], v[100:101], s[0:1], v[126:127]
	v_fma_f64 v[100:101], v[100:101], s[0:1], v[104:105]
	;; [unrolled: 1-line block ×16, first 2 shown]
	v_sub_nc_u32_e32 v36, v40, v117
	v_cmp_gt_u32_e64 s0, 15, v116
	s_delay_alu instid0(VALU_DEP_2) | instskip(SKIP_1) | instid1(VALU_DEP_2)
	v_mul_u32_u24_e32 v40, 0x4b0, v36
	v_mad_u32_u24 v36, v116, 40, 0
	v_lshlrev_b32_e32 v122, 3, v40
	s_delay_alu instid0(VALU_DEP_2) | instskip(NEXT) | instid1(VALU_DEP_2)
	v_add_nc_u32_e32 v41, 0x1770, v36
	v_add_nc_u32_e32 v84, v36, v122
	s_delay_alu instid0(VALU_DEP_2) | instskip(NEXT) | instid1(VALU_DEP_2)
	v_add_nc_u32_e32 v36, v41, v122
	v_add_nc_u32_e32 v85, 0xbc8, v84
	;; [unrolled: 1-line block ×3, first 2 shown]
	ds_store_2addr_b64 v85, v[120:121], v[100:101] offset1:1
	ds_store_2addr_b64 v84, v[110:111], v[104:105] offset1:1
	ds_store_2addr_b64 v84, v[102:103], v[42:43] offset0:2 offset1:3
	ds_store_2addr_b64 v37, v[112:113], v[108:109] offset1:1
	ds_store_2addr_b64 v36, v[114:115], v[126:127] offset1:1
	ds_store_b64 v84, v[48:49] offset:32
	ds_store_b64 v84, v[92:93] offset:3032
	ds_store_2addr_b64 v36, v[128:129], v[96:97] offset0:2 offset1:3
	ds_store_b64 v36, v[94:95] offset:32
	s_and_saveexec_b32 s1, s0
	s_cbranch_execz .LBB0_14
; %bb.13:
	v_lshl_add_u32 v40, v40, 3, v41
	s_delay_alu instid0(VALU_DEP_1)
	v_add_nc_u32_e32 v41, 0xbc8, v40
	v_add_nc_u32_e32 v42, 0xbb8, v40
	ds_store_2addr_b64 v41, v[88:89], v[90:91] offset1:1
	ds_store_2addr_b64 v42, v[0:1], v[2:3] offset1:1
	ds_store_b64 v40, v[60:61] offset:3032
.LBB0_14:
	s_wait_alu 0xfffe
	s_or_b32 exec_lo, exec_lo, s1
	v_lshlrev_b32_e32 v40, 3, v116
	global_wb scope:SCOPE_SE
	s_wait_dscnt 0x0
	s_barrier_signal -1
	s_barrier_wait -1
	global_inv scope:SCOPE_SE
	v_add3_u32 v120, 0, v40, v122
	v_add3_u32 v121, 0, v122, v40
	s_delay_alu instid0(VALU_DEP_2)
	v_add_nc_u32_e32 v40, 0x400, v120
	v_add_nc_u32_e32 v41, 0x800, v120
	;; [unrolled: 1-line block ×5, first 2 shown]
	ds_load_b64 v[48:49], v121
	v_add_nc_u32_e32 v85, 0x1000, v120
	ds_load_2addr_b64 v[112:115], v40 offset0:112 offset1:187
	ds_load_2addr_b64 v[100:103], v41 offset0:134 offset1:224
	;; [unrolled: 1-line block ×7, first 2 shown]
	s_and_saveexec_b32 s1, s0
	s_cbranch_execz .LBB0_16
; %bb.15:
	v_add_nc_u32_e32 v0, 0x700, v120
	v_add_nc_u32_e32 v60, 0x1600, v120
	ds_load_2addr_b64 v[0:3], v0 offset0:1 offset1:241
	ds_load_2addr_b64 v[88:91], v60 offset0:1 offset1:241
	ds_load_b64 v[60:61], v120 offset:9480
.LBB0_16:
	s_wait_alu 0xfffe
	s_or_b32 exec_lo, exec_lo, s1
	v_add_f64_e32 v[123:124], v[14:15], v[18:19]
	v_add_f64_e32 v[125:126], v[46:47], v[6:7]
	;; [unrolled: 1-line block ×9, first 2 shown]
	v_add_f64_e64 v[4:5], v[44:45], -v[4:5]
	v_add_f64_e64 v[12:13], v[12:13], -v[16:17]
	v_add_f64_e32 v[16:17], v[38:39], v[70:71]
	v_add_f64_e32 v[44:45], v[62:63], v[58:59]
	;; [unrolled: 1-line block ×3, first 2 shown]
	v_add_f64_e64 v[8:9], v[68:69], -v[8:9]
	v_add_f64_e64 v[24:25], v[28:29], -v[24:25]
	;; [unrolled: 1-line block ×6, first 2 shown]
	s_mov_b32 s2, 0x134454ff
	s_mov_b32 s3, 0x3fee6f0e
	s_mov_b32 s7, 0xbfee6f0e
	s_wait_alu 0xfffe
	s_mov_b32 s6, s2
	v_add_f64_e64 v[76:77], v[46:47], -v[14:15]
	v_add_f64_e64 v[80:81], v[6:7], -v[18:19]
	v_add_f64_e64 v[46:47], v[14:15], -v[46:47]
	v_add_f64_e64 v[143:144], v[66:67], -v[74:75]
	v_add_f64_e64 v[145:146], v[74:75], -v[66:67]
	v_add_nc_u32_e32 v117, 0xe1, v116
	global_wb scope:SCOPE_SE
	s_wait_dscnt 0x0
	s_barrier_signal -1
	s_barrier_wait -1
	global_inv scope:SCOPE_SE
	v_fma_f64 v[123:124], v[123:124], -0.5, v[50:51]
	v_fma_f64 v[50:51], v[125:126], -0.5, v[50:51]
	v_fma_f64 v[28:29], v[127:128], -0.5, v[38:39]
	v_fma_f64 v[38:39], v[129:130], -0.5, v[38:39]
	v_fma_f64 v[52:53], v[131:132], -0.5, v[62:63]
	v_fma_f64 v[62:63], v[133:134], -0.5, v[62:63]
	v_fma_f64 v[68:69], v[135:136], -0.5, v[86:87]
	v_fma_f64 v[72:73], v[137:138], -0.5, v[86:87]
	v_add_f64_e64 v[85:86], v[18:19], -v[6:7]
	v_add_f64_e64 v[125:126], v[70:71], -v[30:31]
	;; [unrolled: 1-line block ×8, first 2 shown]
	v_add_f64_e32 v[14:15], v[14:15], v[139:140]
	v_add_f64_e32 v[16:17], v[30:31], v[16:17]
	;; [unrolled: 1-line block ×4, first 2 shown]
	v_add_f64_e64 v[129:130], v[26:27], -v[10:11]
	v_add_f64_e64 v[133:134], v[22:23], -v[34:35]
	;; [unrolled: 1-line block ×3, first 2 shown]
	v_add_f64_e32 v[76:77], v[76:77], v[80:81]
	v_fma_f64 v[54:55], v[4:5], s[2:3], v[123:124]
	s_wait_alu 0xfffe
	v_fma_f64 v[82:83], v[4:5], s[6:7], v[123:124]
	v_fma_f64 v[123:124], v[12:13], s[6:7], v[50:51]
	v_fma_f64 v[50:51], v[12:13], s[2:3], v[50:51]
	v_fma_f64 v[139:140], v[8:9], s[2:3], v[28:29]
	v_fma_f64 v[28:29], v[8:9], s[6:7], v[28:29]
	v_fma_f64 v[141:142], v[24:25], s[6:7], v[38:39]
	v_fma_f64 v[38:39], v[24:25], s[2:3], v[38:39]
	v_fma_f64 v[147:148], v[20:21], s[2:3], v[52:53]
	v_fma_f64 v[52:53], v[20:21], s[6:7], v[52:53]
	v_fma_f64 v[149:150], v[32:33], s[6:7], v[62:63]
	v_fma_f64 v[62:63], v[32:33], s[2:3], v[62:63]
	v_fma_f64 v[151:152], v[56:57], s[2:3], v[68:69]
	v_fma_f64 v[68:69], v[56:57], s[6:7], v[68:69]
	v_fma_f64 v[153:154], v[64:65], s[6:7], v[72:73]
	v_fma_f64 v[72:73], v[64:65], s[2:3], v[72:73]
	s_mov_b32 s2, 0x4755a5e
	s_mov_b32 s3, 0x3fe2cf23
	;; [unrolled: 1-line block ×3, first 2 shown]
	s_wait_alu 0xfffe
	s_mov_b32 s6, s2
	v_add_f64_e32 v[46:47], v[46:47], v[85:86]
	v_add_f64_e32 v[80:81], v[127:128], v[125:126]
	;; [unrolled: 1-line block ×11, first 2 shown]
	v_fma_f64 v[30:31], v[12:13], s[2:3], v[54:55]
	s_wait_alu 0xfffe
	v_fma_f64 v[12:13], v[12:13], s[6:7], v[82:83]
	v_fma_f64 v[34:35], v[4:5], s[2:3], v[123:124]
	;; [unrolled: 1-line block ×15, first 2 shown]
	s_mov_b32 s2, 0x372fe950
	s_mov_b32 s3, 0x3fd3c6ef
	v_add_f64_e32 v[68:69], v[6:7], v[14:15]
	v_add_f64_e32 v[10:11], v[10:11], v[16:17]
	;; [unrolled: 1-line block ×4, first 2 shown]
	s_wait_alu 0xfffe
	v_fma_f64 v[18:19], v[76:77], s[2:3], v[30:31]
	v_fma_f64 v[22:23], v[76:77], s[2:3], v[12:13]
	v_fma_f64 v[26:27], v[46:47], s[2:3], v[34:35]
	v_fma_f64 v[30:31], v[46:47], s[2:3], v[44:45]
	v_fma_f64 v[34:35], v[80:81], s[2:3], v[50:51]
	v_fma_f64 v[24:25], v[80:81], s[2:3], v[24:25]
	v_fma_f64 v[28:29], v[70:71], s[2:3], v[28:29]
	v_fma_f64 v[8:9], v[70:71], s[2:3], v[8:9]
	v_fma_f64 v[38:39], v[85:86], s[2:3], v[38:39]
	v_fma_f64 v[32:33], v[85:86], s[2:3], v[32:33]
	v_fma_f64 v[44:45], v[58:59], s[2:3], v[52:53]
	v_fma_f64 v[20:21], v[58:59], s[2:3], v[20:21]
	v_fma_f64 v[6:7], v[125:126], s[2:3], v[54:55]
	v_fma_f64 v[46:47], v[125:126], s[2:3], v[62:63]
	v_fma_f64 v[12:13], v[78:79], s[2:3], v[64:65]
	v_fma_f64 v[14:15], v[78:79], s[2:3], v[56:57]
	ds_store_2addr_b64 v84, v[68:69], v[18:19] offset1:1
	ds_store_2addr_b64 v84, v[26:27], v[30:31] offset0:2 offset1:3
	ds_store_b64 v84, v[22:23] offset:32
	ds_store_2addr_b64 v37, v[10:11], v[34:35] offset1:1
	ds_store_2addr_b64 v37, v[28:29], v[8:9] offset0:2 offset1:3
	ds_store_b64 v37, v[24:25] offset:32
	ds_store_2addr_b64 v36, v[16:17], v[38:39] offset1:1
	ds_store_2addr_b64 v36, v[44:45], v[20:21] offset0:2 offset1:3
	ds_store_b64 v36, v[32:33] offset:32
	s_and_saveexec_b32 s1, s0
	s_cbranch_execz .LBB0_18
; %bb.17:
	v_mul_u32_u24_e32 v8, 40, v117
	s_delay_alu instid0(VALU_DEP_1)
	v_add3_u32 v8, 0, v8, v122
	ds_store_2addr_b64 v8, v[4:5], v[6:7] offset1:1
	ds_store_2addr_b64 v8, v[12:13], v[14:15] offset0:2 offset1:3
	ds_store_b64 v8, v[46:47] offset:32
.LBB0_18:
	s_wait_alu 0xfffe
	s_or_b32 exec_lo, exec_lo, s1
	v_add_nc_u32_e32 v8, 0x400, v120
	global_wb scope:SCOPE_SE
	s_wait_dscnt 0x0
	s_barrier_signal -1
	s_barrier_wait -1
	global_inv scope:SCOPE_SE
	v_add_nc_u32_e32 v9, 0x800, v120
	ds_load_b64 v[44:45], v121
	ds_load_2addr_b64 v[32:35], v8 offset0:112 offset1:187
	v_add_nc_u32_e32 v8, 0x1400, v120
	v_add_nc_u32_e32 v10, 0x1800, v120
	;; [unrolled: 1-line block ×4, first 2 shown]
	ds_load_2addr_b64 v[28:31], v9 offset0:134 offset1:224
	ds_load_2addr_b64 v[36:39], v8 offset0:80 offset1:155
	;; [unrolled: 1-line block ×6, first 2 shown]
	s_and_saveexec_b32 s1, s0
	s_cbranch_execz .LBB0_20
; %bb.19:
	v_add_nc_u32_e32 v4, 0x700, v120
	v_add_nc_u32_e32 v12, 0x1600, v120
	ds_load_2addr_b64 v[4:7], v4 offset0:1 offset1:241
	ds_load_2addr_b64 v[12:15], v12 offset0:1 offset1:241
	ds_load_b64 v[46:47], v120 offset:9480
.LBB0_20:
	s_wait_alu 0xfffe
	s_or_b32 exec_lo, exec_lo, s1
	v_and_b32_e32 v50, 0xffff, v117
	v_and_b32_e32 v125, 0xff, v116
	v_add_nc_u32_e32 v124, 0x4b, v116
	v_add_nc_u32_e32 v123, 0x96, v116
	s_mov_b32 s12, 0x134454ff
	v_mul_u32_u24_e32 v50, 0xcccd, v50
	v_mul_lo_u16 v51, 0xcd, v125
	v_and_b32_e32 v66, 0xff, v124
	v_and_b32_e32 v67, 0xff, v123
	s_mov_b32 s13, 0xbfee6f0e
	v_lshrrev_b32_e32 v50, 18, v50
	v_lshrrev_b16 v166, 10, v51
	v_mul_lo_u16 v66, 0xcd, v66
	s_mov_b32 s3, 0x3fee6f0e
	s_mov_b32 s2, s12
	v_mul_lo_u16 v50, v50, 5
	s_mov_b32 s14, 0x4755a5e
	v_lshrrev_b16 v169, 10, v66
	s_mov_b32 s15, 0xbfe2cf23
	s_mov_b32 s7, 0x3fe2cf23
	v_sub_nc_u16 v50, v117, v50
	s_wait_alu 0xfffe
	s_mov_b32 s6, s14
	v_mul_lo_u16 v66, v169, 5
	s_mov_b32 s10, 0x372fe950
	s_mov_b32 s11, 0x3fd3c6ef
	v_and_b32_e32 v167, 0xffff, v50
	v_mul_lo_u16 v50, v166, 5
	v_sub_nc_u16 v66, v124, v66
	s_delay_alu instid0(VALU_DEP_3) | instskip(NEXT) | instid1(VALU_DEP_3)
	v_lshlrev_b32_e32 v58, 6, v167
	v_sub_nc_u16 v54, v116, v50
	s_delay_alu instid0(VALU_DEP_3) | instskip(SKIP_2) | instid1(VALU_DEP_1)
	v_and_b32_e32 v170, 0xff, v66
	global_load_b128 v[50:53], v58, s[4:5] offset:48
	v_and_b32_e32 v168, 0xff, v54
	v_lshlrev_b32_e32 v59, 6, v168
	s_clause 0x3
	global_load_b128 v[54:57], v59, s[4:5]
	global_load_b128 v[62:65], v59, s[4:5] offset:16
	global_load_b128 v[68:71], v59, s[4:5] offset:32
	;; [unrolled: 1-line block ×3, first 2 shown]
	v_mul_lo_u16 v59, 0xcd, v67
	s_delay_alu instid0(VALU_DEP_1)
	v_lshrrev_b16 v171, 10, v59
	v_lshlrev_b32_e32 v59, 6, v170
	s_clause 0x2
	global_load_b128 v[126:129], v58, s[4:5] offset:16
	global_load_b128 v[130:133], v58, s[4:5] offset:32
	global_load_b128 v[76:79], v59, s[4:5]
	v_mul_lo_u16 v66, v171, 5
	global_load_b128 v[134:137], v59, s[4:5] offset:32
	v_sub_nc_u16 v66, v123, v66
	s_delay_alu instid0(VALU_DEP_1) | instskip(NEXT) | instid1(VALU_DEP_1)
	v_and_b32_e32 v172, 0xff, v66
	v_lshlrev_b32_e32 v66, 6, v172
	s_clause 0x6
	global_load_b128 v[138:141], v66, s[4:5]
	global_load_b128 v[142:145], v59, s[4:5] offset:16
	global_load_b128 v[146:149], v66, s[4:5] offset:16
	;; [unrolled: 1-line block ×5, first 2 shown]
	global_load_b128 v[162:165], v58, s[4:5]
	global_wb scope:SCOPE_SE
	s_wait_loadcnt_dscnt 0x0
	s_barrier_signal -1
	s_barrier_wait -1
	global_inv scope:SCOPE_SE
	v_mul_f64_e32 v[58:59], v[46:47], v[52:53]
	v_mul_f64_e32 v[66:67], v[60:61], v[52:53]
	;; [unrolled: 1-line block ×8, first 2 shown]
	v_fma_f64 v[52:53], v[60:61], v[50:51], v[58:59]
	v_mul_f64_e32 v[60:61], v[36:37], v[70:71]
	v_fma_f64 v[46:47], v[46:47], v[50:51], -v[66:67]
	v_mul_f64_e32 v[70:71], v[108:109], v[70:71]
	v_fma_f64 v[56:57], v[112:113], v[54:55], v[80:81]
	v_mul_f64_e32 v[80:81], v[12:13], v[128:129]
	v_fma_f64 v[58:59], v[102:103], v[62:63], v[84:85]
	v_fma_f64 v[50:51], v[30:31], v[62:63], -v[64:65]
	v_mul_f64_e32 v[30:31], v[34:35], v[78:79]
	v_mul_f64_e32 v[62:63], v[38:39], v[136:137]
	;; [unrolled: 1-line block ×3, first 2 shown]
	v_fma_f64 v[54:55], v[32:33], v[54:55], -v[82:83]
	v_mul_f64_e32 v[82:83], v[14:15], v[132:133]
	v_mul_f64_e32 v[64:65], v[28:29], v[140:141]
	v_fma_f64 v[18:19], v[18:19], v[72:73], -v[74:75]
	v_mul_f64_e32 v[102:103], v[114:115], v[78:79]
	v_fma_f64 v[66:67], v[108:109], v[68:69], v[60:61]
	v_mul_f64_e32 v[108:109], v[110:111], v[136:137]
	v_fma_f64 v[32:33], v[36:37], v[68:69], -v[70:71]
	v_fma_f64 v[68:69], v[98:99], v[72:73], v[86:87]
	v_mul_f64_e32 v[86:87], v[26:27], v[148:149]
	v_mul_f64_e32 v[98:99], v[88:89], v[128:129]
	v_fma_f64 v[36:37], v[88:89], v[126:127], v[80:81]
	v_fma_f64 v[70:71], v[114:115], v[76:77], v[30:31]
	v_mul_f64_e32 v[30:31], v[16:17], v[152:153]
	v_fma_f64 v[72:73], v[110:111], v[134:135], v[62:63]
	v_mul_f64_e32 v[62:63], v[20:21], v[156:157]
	v_mul_f64_e32 v[110:111], v[22:23], v[160:161]
	v_fma_f64 v[80:81], v[104:105], v[142:143], v[84:85]
	v_mul_f64_e32 v[84:85], v[6:7], v[164:165]
	v_fma_f64 v[60:61], v[90:91], v[130:131], v[82:83]
	;; [unrolled: 2-line block ×3, first 2 shown]
	v_mul_f64_e32 v[64:65], v[100:101], v[140:141]
	v_mul_f64_e32 v[100:101], v[104:105], v[144:145]
	;; [unrolled: 1-line block ×3, first 2 shown]
	v_fma_f64 v[76:77], v[34:35], v[76:77], -v[102:103]
	v_add_f64_e64 v[102:103], v[54:55], -v[18:19]
	v_add_f64_e64 v[112:113], v[66:67], -v[68:69]
	v_fma_f64 v[78:79], v[106:107], v[146:147], v[86:87]
	v_mul_f64_e32 v[106:107], v[92:93], v[156:157]
	v_add_f64_e32 v[132:133], v[40:41], v[70:71]
	v_fma_f64 v[82:83], v[96:97], v[150:151], v[30:31]
	v_mul_f64_e32 v[96:97], v[96:97], v[152:153]
	v_fma_f64 v[88:89], v[92:93], v[154:155], v[62:63]
	v_fma_f64 v[86:87], v[94:95], v[158:159], v[110:111]
	v_mul_f64_e32 v[62:63], v[94:95], v[160:161]
	v_mul_f64_e32 v[30:31], v[2:3], v[164:165]
	v_fma_f64 v[84:85], v[2:3], v[162:163], v[84:85]
	v_add_f64_e32 v[92:93], v[58:59], v[66:67]
	v_add_f64_e32 v[94:95], v[80:81], v[72:73]
	v_fma_f64 v[34:35], v[14:15], v[130:131], -v[90:91]
	v_fma_f64 v[24:25], v[24:25], v[142:143], -v[100:101]
	;; [unrolled: 1-line block ×3, first 2 shown]
	v_add_f64_e64 v[104:105], v[50:51], -v[32:33]
	v_add_f64_e64 v[110:111], v[58:59], -v[56:57]
	;; [unrolled: 1-line block ×4, first 2 shown]
	v_fma_f64 v[2:3], v[20:21], v[154:155], -v[106:107]
	v_fma_f64 v[20:21], v[28:29], v[138:139], -v[64:65]
	v_add_f64_e32 v[28:29], v[56:57], v[68:69]
	v_add_f64_e32 v[64:65], v[36:37], v[60:61]
	v_add_f64_e64 v[106:107], v[56:57], -v[58:59]
	v_add_f64_e64 v[154:155], v[78:79], -v[74:75]
	v_fma_f64 v[16:17], v[16:17], v[150:151], -v[96:97]
	v_add_f64_e32 v[96:97], v[78:79], v[82:83]
	v_add_f64_e32 v[100:101], v[74:75], v[86:87]
	v_fma_f64 v[22:23], v[22:23], v[158:159], -v[62:63]
	v_fma_f64 v[30:31], v[6:7], v[162:163], -v[30:31]
	;; [unrolled: 1-line block ×3, first 2 shown]
	v_add_f64_e32 v[62:63], v[70:71], v[88:89]
	v_fma_f64 v[38:39], v[12:13], v[126:127], -v[98:99]
	v_add_f64_e32 v[90:91], v[84:85], v[52:53]
	v_add_f64_e32 v[98:99], v[48:49], v[56:57]
	v_add_f64_e64 v[108:109], v[68:69], -v[66:67]
	v_add_f64_e64 v[114:115], v[84:85], -v[36:37]
	;; [unrolled: 1-line block ×4, first 2 shown]
	v_add_f64_e32 v[134:135], v[42:43], v[74:75]
	v_fma_f64 v[92:93], v[92:93], -0.5, v[48:49]
	v_add_f64_e64 v[144:145], v[88:89], -v[72:73]
	v_add_f64_e64 v[148:149], v[72:73], -v[88:89]
	;; [unrolled: 1-line block ×6, first 2 shown]
	v_fma_f64 v[138:139], v[28:29], -0.5, v[48:49]
	v_fma_f64 v[14:15], v[64:65], -0.5, v[0:1]
	v_fma_f64 v[64:65], v[94:95], -0.5, v[40:41]
	v_add_f64_e64 v[142:143], v[26:27], -v[16:17]
	v_fma_f64 v[96:97], v[96:97], -0.5, v[42:43]
	v_fma_f64 v[100:101], v[100:101], -0.5, v[42:43]
	v_add_f64_e64 v[94:95], v[20:21], -v[22:23]
	v_add_f64_e64 v[12:13], v[30:31], -v[46:47]
	;; [unrolled: 1-line block ×3, first 2 shown]
	v_fma_f64 v[62:63], v[62:63], -0.5, v[40:41]
	v_add_f64_e64 v[40:41], v[38:39], -v[34:35]
	v_fma_f64 v[28:29], v[90:91], -0.5, v[0:1]
	v_add_f64_e64 v[90:91], v[70:71], -v[80:81]
	v_add_f64_e32 v[98:99], v[98:99], v[58:59]
	v_add_f64_e32 v[106:107], v[106:107], v[108:109]
	;; [unrolled: 1-line block ×7, first 2 shown]
	v_fma_f64 v[114:115], v[102:103], s[12:13], v[92:93]
	v_fma_f64 v[92:93], v[102:103], s[2:3], v[92:93]
	v_fma_f64 v[126:127], v[104:105], s[2:3], v[138:139]
	v_fma_f64 v[128:129], v[104:105], s[12:13], v[138:139]
	v_fma_f64 v[132:133], v[136:137], s[12:13], v[64:65]
	v_fma_f64 v[64:65], v[136:137], s[2:3], v[64:65]
	v_fma_f64 v[158:159], v[142:143], s[2:3], v[100:101]
	v_fma_f64 v[100:101], v[142:143], s[12:13], v[100:101]
	v_fma_f64 v[130:131], v[12:13], s[12:13], v[14:15]
	v_fma_f64 v[138:139], v[94:95], s[12:13], v[96:97]
	v_fma_f64 v[134:135], v[140:141], s[2:3], v[62:63]
	v_fma_f64 v[62:63], v[140:141], s[12:13], v[62:63]
	v_fma_f64 v[160:161], v[40:41], s[2:3], v[28:29]
	v_fma_f64 v[96:97], v[94:95], s[2:3], v[96:97]
	v_add_f64_e32 v[90:91], v[90:91], v[144:145]
	v_add_f64_e32 v[98:99], v[98:99], v[66:67]
	;; [unrolled: 1-line block ×7, first 2 shown]
	v_fma_f64 v[114:115], v[104:105], s[14:15], v[114:115]
	s_wait_alu 0xfffe
	v_fma_f64 v[92:93], v[104:105], s[6:7], v[92:93]
	v_fma_f64 v[104:105], v[102:103], s[14:15], v[126:127]
	;; [unrolled: 1-line block ×13, first 2 shown]
	v_add_f64_e32 v[98:99], v[98:99], v[68:69]
	v_add_f64_e32 v[110:111], v[110:111], v[88:89]
	v_add_f64_e32 v[112:113], v[112:113], v[86:87]
	v_fma_f64 v[114:115], v[106:107], s[10:11], v[114:115]
	v_fma_f64 v[106:107], v[106:107], s[10:11], v[92:93]
	v_and_b32_e32 v92, 0xffff, v169
	v_and_b32_e32 v93, 0xffff, v171
	s_delay_alu instid0(VALU_DEP_1)
	v_mad_u32_u24 v93, 0xc8, v93, 0
	v_fma_f64 v[104:105], v[108:109], s[10:11], v[104:105]
	v_fma_f64 v[102:103], v[108:109], s[10:11], v[102:103]
	;; [unrolled: 1-line block ×7, first 2 shown]
	v_and_b32_e32 v90, 0xffff, v166
	v_and_b32_e32 v91, 0xff, v117
	v_fma_f64 v[64:65], v[48:49], s[10:11], v[100:101]
	v_fma_f64 v[132:133], v[146:147], s[10:11], v[134:135]
	;; [unrolled: 1-line block ×5, first 2 shown]
	v_mad_u32_u24 v94, 0xc8, v90, 0
	v_lshlrev_b32_e32 v97, 3, v168
	v_mad_u32_u24 v100, 0xc8, v92, 0
	v_lshlrev_b32_e32 v90, 3, v167
	s_delay_alu instid0(VALU_DEP_3) | instskip(SKIP_2) | instid1(VALU_DEP_2)
	v_add3_u32 v92, v94, v97, v122
	v_lshlrev_b32_e32 v94, 3, v170
	v_lshlrev_b32_e32 v97, 3, v172
	v_add3_u32 v94, v100, v94, v122
	s_delay_alu instid0(VALU_DEP_2)
	v_add3_u32 v93, v93, v97, v122
	ds_store_2addr_b64 v92, v[98:99], v[114:115] offset1:5
	ds_store_2addr_b64 v92, v[104:105], v[102:103] offset0:10 offset1:15
	ds_store_b64 v92, v[106:107] offset:160
	ds_store_2addr_b64 v94, v[110:111], v[108:109] offset1:5
	ds_store_2addr_b64 v94, v[128:129], v[130:131] offset0:10 offset1:15
	ds_store_b64 v94, v[126:127] offset:160
	;; [unrolled: 3-line block ×3, first 2 shown]
	s_and_saveexec_b32 s1, s0
	s_cbranch_execz .LBB0_22
; %bb.21:
	v_add_f64_e32 v[0:1], v[0:1], v[84:85]
	v_mul_f64_e32 v[95:96], s[2:3], v[40:41]
	v_mul_f64_e32 v[97:98], s[2:3], v[12:13]
	v_mul_f64_e32 v[12:13], s[6:7], v[12:13]
	v_mul_f64_e32 v[40:41], s[6:7], v[40:41]
	v_mul_f64_e32 v[48:49], s[10:11], v[48:49]
	v_mul_f64_e32 v[42:43], s[10:11], v[42:43]
	v_add_f64_e32 v[0:1], v[0:1], v[36:37]
	v_add_f64_e64 v[28:29], v[28:29], -v[95:96]
	v_add_f64_e32 v[14:15], v[14:15], v[97:98]
	s_delay_alu instid0(VALU_DEP_3) | instskip(NEXT) | instid1(VALU_DEP_3)
	v_add_f64_e32 v[0:1], v[0:1], v[60:61]
	v_add_f64_e32 v[12:13], v[12:13], v[28:29]
	s_delay_alu instid0(VALU_DEP_3) | instskip(SKIP_1) | instid1(VALU_DEP_1)
	v_add_f64_e32 v[14:15], v[40:41], v[14:15]
	v_mul_lo_u16 v28, 0xcd, v91
	v_lshrrev_b16 v28, 10, v28
	s_delay_alu instid0(VALU_DEP_1) | instskip(NEXT) | instid1(VALU_DEP_1)
	v_and_b32_e32 v28, 0xffff, v28
	v_mad_u32_u24 v28, 0xc8, v28, 0
	s_delay_alu instid0(VALU_DEP_1)
	v_add3_u32 v28, v28, v90, v122
	v_add_f64_e32 v[0:1], v[0:1], v[52:53]
	v_add_f64_e32 v[12:13], v[48:49], v[12:13]
	;; [unrolled: 1-line block ×3, first 2 shown]
	ds_store_2addr_b64 v28, v[0:1], v[62:63] offset1:5
	ds_store_2addr_b64 v28, v[64:65], v[12:13] offset0:10 offset1:15
	ds_store_b64 v28, v[14:15] offset:160
.LBB0_22:
	s_wait_alu 0xfffe
	s_or_b32 exec_lo, exec_lo, s1
	v_add_f64_e32 v[0:1], v[50:51], v[32:33]
	v_add_f64_e32 v[12:13], v[54:55], v[18:19]
	;; [unrolled: 1-line block ×9, first 2 shown]
	v_add_f64_e64 v[56:57], v[56:57], -v[68:69]
	v_add_f64_e64 v[58:59], v[58:59], -v[66:67]
	v_add_f64_e32 v[66:67], v[8:9], v[76:77]
	v_add_f64_e32 v[68:69], v[10:11], v[20:21]
	v_add_f64_e64 v[70:71], v[70:71], -v[88:89]
	v_add_f64_e64 v[72:73], v[80:81], -v[72:73]
	;; [unrolled: 1-line block ×14, first 2 shown]
	global_wb scope:SCOPE_SE
	s_wait_dscnt 0x0
	s_barrier_signal -1
	s_barrier_wait -1
	global_inv scope:SCOPE_SE
	v_fma_f64 v[0:1], v[0:1], -0.5, v[44:45]
	v_fma_f64 v[12:13], v[12:13], -0.5, v[44:45]
	;; [unrolled: 1-line block ×4, first 2 shown]
	v_add_f64_e64 v[28:29], v[78:79], -v[82:83]
	v_fma_f64 v[78:79], v[40:41], -0.5, v[10:11]
	v_fma_f64 v[10:11], v[48:49], -0.5, v[10:11]
	v_add_f64_e64 v[44:45], v[36:37], -v[60:61]
	v_fma_f64 v[36:37], v[95:96], -0.5, v[4:5]
	v_fma_f64 v[40:41], v[97:98], -0.5, v[4:5]
	v_add_f64_e64 v[48:49], v[54:55], -v[50:51]
	v_add_f64_e64 v[54:55], v[50:51], -v[54:55]
	;; [unrolled: 1-line block ×6, first 2 shown]
	v_add_f64_e32 v[99:100], v[99:100], v[50:51]
	v_add_f64_e32 v[24:25], v[66:67], v[24:25]
	;; [unrolled: 1-line block ×5, first 2 shown]
	v_add_nc_u32_e32 v103, 0x1800, v120
	v_fma_f64 v[66:67], v[56:57], s[2:3], v[0:1]
	v_fma_f64 v[0:1], v[56:57], s[12:13], v[0:1]
	;; [unrolled: 1-line block ×14, first 2 shown]
	v_add_f64_e32 v[52:53], v[48:49], v[52:53]
	v_add_f64_e32 v[54:55], v[54:55], v[60:61]
	;; [unrolled: 1-line block ×9, first 2 shown]
	v_add_nc_u32_e32 v100, 0x400, v120
	v_add_nc_u32_e32 v102, 0x800, v120
	;; [unrolled: 1-line block ×3, first 2 shown]
	v_fma_f64 v[24:25], v[58:59], s[6:7], v[66:67]
	v_fma_f64 v[0:1], v[58:59], s[14:15], v[0:1]
	;; [unrolled: 1-line block ×14, first 2 shown]
	v_add_nc_u32_e32 v74, 0x1c00, v120
	v_add_f64_e32 v[32:33], v[32:33], v[18:19]
	v_add_f64_e32 v[78:79], v[6:7], v[2:3]
	;; [unrolled: 1-line block ×3, first 2 shown]
	v_fma_f64 v[84:85], v[52:53], s[10:11], v[24:25]
	v_fma_f64 v[52:53], v[52:53], s[10:11], v[0:1]
	;; [unrolled: 1-line block ×14, first 2 shown]
	ds_load_2addr_b64 v[22:25], v120 offset0:75 offset1:150
	ds_load_b64 v[70:71], v121
	ds_load_b64 v[72:73], v120 offset:9000
	ds_load_2addr_b64 v[14:17], v100 offset0:97 offset1:172
	ds_load_2addr_b64 v[6:9], v102 offset0:119 offset1:194
	;; [unrolled: 1-line block ×6, first 2 shown]
	global_wb scope:SCOPE_SE
	s_wait_dscnt 0x0
	s_barrier_signal -1
	s_barrier_wait -1
	global_inv scope:SCOPE_SE
	ds_store_2addr_b64 v92, v[32:33], v[84:85] offset1:5
	ds_store_2addr_b64 v92, v[86:87], v[54:55] offset0:10 offset1:15
	ds_store_b64 v92, v[52:53] offset:160
	ds_store_2addr_b64 v94, v[78:79], v[56:57] offset1:5
	ds_store_2addr_b64 v94, v[58:59], v[75:76] offset0:10 offset1:15
	ds_store_b64 v94, v[60:61] offset:160
	;; [unrolled: 3-line block ×3, first 2 shown]
	s_and_saveexec_b32 s1, s0
	s_cbranch_execz .LBB0_24
; %bb.23:
	v_add_f64_e32 v[4:5], v[4:5], v[30:31]
	v_mul_f64_e32 v[30:31], s[2:3], v[44:45]
	v_mul_f64_e32 v[32:33], s[2:3], v[42:43]
	;; [unrolled: 1-line block ×4, first 2 shown]
	v_add_f64_e32 v[4:5], v[4:5], v[38:39]
	v_add_f64_e32 v[30:31], v[30:31], v[40:41]
	v_add_f64_e64 v[32:33], v[36:37], -v[32:33]
	v_mul_f64_e32 v[38:39], s[10:11], v[50:51]
	v_mul_f64_e32 v[36:37], s[10:11], v[48:49]
	v_add_f64_e32 v[4:5], v[4:5], v[34:35]
	v_add_f64_e64 v[30:31], v[30:31], -v[42:43]
	v_add_f64_e64 v[32:33], v[32:33], -v[44:45]
	v_mul_lo_u16 v34, 0xcd, v91
	s_delay_alu instid0(VALU_DEP_1) | instskip(NEXT) | instid1(VALU_DEP_1)
	v_lshrrev_b16 v34, 10, v34
	v_and_b32_e32 v34, 0xffff, v34
	s_delay_alu instid0(VALU_DEP_1) | instskip(NEXT) | instid1(VALU_DEP_1)
	v_mad_u32_u24 v34, 0xc8, v34, 0
	v_add3_u32 v34, v34, v90, v122
	v_add_f64_e32 v[4:5], v[4:5], v[46:47]
	v_add_f64_e32 v[30:31], v[38:39], v[30:31]
	;; [unrolled: 1-line block ×3, first 2 shown]
	ds_store_2addr_b64 v34, v[4:5], v[66:67] offset1:5
	ds_store_2addr_b64 v34, v[68:69], v[30:31] offset0:10 offset1:15
	ds_store_b64 v34, v[32:33] offset:160
.LBB0_24:
	s_wait_alu 0xfffe
	s_or_b32 exec_lo, exec_lo, s1
	v_mul_lo_u16 v4, v125, 41
	global_wb scope:SCOPE_SE
	s_wait_dscnt 0x0
	s_barrier_signal -1
	s_barrier_wait -1
	global_inv scope:SCOPE_SE
	v_lshrrev_b16 v4, 10, v4
	s_mov_b32 s0, 0x667f3bcd
	s_mov_b32 s1, 0x3fe6a09e
	;; [unrolled: 1-line block ×3, first 2 shown]
	s_wait_alu 0xfffe
	s_mov_b32 s14, s0
	v_mul_lo_u16 v5, v4, 25
	s_mov_b32 s2, 0xcf328d46
	s_mov_b32 s3, 0xbfed906b
	;; [unrolled: 1-line block ×3, first 2 shown]
	s_wait_alu 0xfffe
	s_mov_b32 s12, s2
	v_sub_nc_u16 v5, v116, v5
	s_mov_b32 s10, 0xa6aea964
	s_mov_b32 s11, 0x3fd87de2
	s_mov_b32 s7, 0xbfd87de2
	s_wait_alu 0xfffe
	s_mov_b32 s6, s10
	v_and_b32_e32 v5, 0xff, v5
	v_and_b32_e32 v4, 0xffff, v4
	s_delay_alu instid0(VALU_DEP_2) | instskip(NEXT) | instid1(VALU_DEP_2)
	v_mul_u32_u24_e32 v30, 15, v5
	v_mad_u32_u24 v4, 0xc80, v4, 0
	v_lshlrev_b32_e32 v5, 3, v5
	s_delay_alu instid0(VALU_DEP_3)
	v_lshlrev_b32_e32 v42, 4, v30
	s_clause 0xe
	global_load_b128 v[38:41], v42, s[4:5] offset:320
	global_load_b128 v[34:37], v42, s[4:5] offset:336
	;; [unrolled: 1-line block ×15, first 2 shown]
	ds_load_2addr_b64 v[112:115], v120 offset0:75 offset1:150
	ds_load_2addr_b64 v[125:128], v100 offset0:97 offset1:172
	;; [unrolled: 1-line block ×7, first 2 shown]
	ds_load_b64 v[175:176], v120 offset:9000
	ds_load_b64 v[74:75], v121
	global_wb scope:SCOPE_SE
	s_wait_loadcnt_dscnt 0x0
	s_barrier_signal -1
	s_barrier_wait -1
	global_inv scope:SCOPE_SE
	v_mul_f64_e32 v[145:146], v[112:113], v[40:41]
	v_mul_f64_e32 v[147:148], v[114:115], v[36:37]
	;; [unrolled: 1-line block ×29, first 2 shown]
	v_fma_f64 v[22:23], v[22:23], v[38:39], v[145:146]
	v_fma_f64 v[24:25], v[24:25], v[34:35], v[147:148]
	v_fma_f64 v[137:138], v[137:138], v[46:47], -v[149:150]
	v_fma_f64 v[139:140], v[139:140], v[50:51], -v[151:152]
	v_fma_f64 v[14:15], v[14:15], v[58:59], v[153:154]
	v_fma_f64 v[40:41], v[127:128], v[54:55], -v[155:156]
	v_fma_f64 v[28:29], v[28:29], v[76:77], v[157:158]
	v_fma_f64 v[127:128], v[2:3], v[30:31], v[159:160]
	v_fma_f64 v[135:136], v[135:136], v[80:81], -v[161:162]
	v_fma_f64 v[26:27], v[26:27], v[84:85], v[163:164]
	v_fma_f64 v[143:144], v[143:144], v[88:89], -v[165:166]
	v_fma_f64 v[141:142], v[141:142], v[92:93], -v[167:168]
	;; [unrolled: 1-line block ×3, first 2 shown]
	v_fma_f64 v[18:19], v[18:19], v[104:105], v[171:172]
	v_fma_f64 v[145:146], v[175:176], v[108:109], -v[173:174]
	v_fma_f64 v[34:35], v[114:115], v[34:35], -v[36:37]
	;; [unrolled: 1-line block ×3, first 2 shown]
	v_fma_f64 v[16:17], v[16:17], v[54:55], v[56:57]
	v_fma_f64 v[6:7], v[6:7], v[46:47], v[48:49]
	;; [unrolled: 1-line block ×4, first 2 shown]
	v_fma_f64 v[50:51], v[131:132], v[76:77], -v[78:79]
	v_fma_f64 v[52:53], v[133:134], v[104:105], -v[106:107]
	v_fma_f64 v[10:11], v[10:11], v[92:93], v[94:95]
	v_fma_f64 v[12:13], v[12:13], v[88:89], v[90:91]
	v_fma_f64 v[112:113], v[112:113], v[38:39], -v[177:178]
	v_fma_f64 v[46:47], v[0:1], v[96:97], v[98:99]
	v_fma_f64 v[48:49], v[129:130], v[84:85], -v[86:87]
	v_fma_f64 v[54:55], v[72:73], v[108:109], v[110:111]
	v_add3_u32 v106, v4, v5, v122
	s_delay_alu instid0(VALU_DEP_1)
	v_add_nc_u32_e32 v5, 0x800, v106
	v_add_nc_u32_e32 v4, 0x400, v106
	v_add_f64_e64 v[58:59], v[24:25], -v[28:29]
	v_add_f64_e64 v[56:57], v[70:71], -v[127:128]
	;; [unrolled: 1-line block ×15, first 2 shown]
	v_fma_f64 v[24:25], v[24:25], 2.0, -v[58:59]
	v_fma_f64 v[54:55], v[70:71], 2.0, -v[56:57]
	v_add_f64_e32 v[78:79], v[56:57], v[0:1]
	v_fma_f64 v[22:23], v[22:23], 2.0, -v[26:27]
	v_add_f64_e32 v[84:85], v[58:59], v[60:61]
	v_add_f64_e32 v[80:81], v[26:27], v[72:73]
	v_fma_f64 v[14:15], v[14:15], 2.0, -v[18:19]
	v_add_f64_e32 v[82:83], v[18:19], v[76:77]
	v_fma_f64 v[42:43], v[42:43], 2.0, -v[76:77]
	v_fma_f64 v[16:17], v[16:17], 2.0, -v[38:39]
	;; [unrolled: 1-line block ×7, first 2 shown]
	v_add_f64_e64 v[12:13], v[20:21], -v[12:13]
	v_add_f64_e64 v[10:11], v[48:49], -v[10:11]
	v_fma_f64 v[46:47], v[46:47], 2.0, -v[52:53]
	v_add_f64_e64 v[52:53], v[50:51], -v[52:53]
	v_fma_f64 v[60:61], v[137:138], 2.0, -v[72:73]
	v_fma_f64 v[70:71], v[56:57], 2.0, -v[78:79]
	;; [unrolled: 1-line block ×6, first 2 shown]
	v_add_f64_e64 v[16:17], v[54:55], -v[16:17]
	v_add_f64_e64 v[56:57], v[28:29], -v[34:35]
	;; [unrolled: 1-line block ×3, first 2 shown]
	v_fma_f64 v[34:35], v[84:85], s[0:1], v[78:79]
	v_add_f64_e64 v[76:77], v[36:37], -v[42:43]
	v_fma_f64 v[42:43], v[82:83], s[0:1], v[80:81]
	v_add_f64_e64 v[72:73], v[24:25], -v[8:9]
	v_fma_f64 v[8:9], v[20:21], 2.0, -v[12:13]
	v_fma_f64 v[20:21], v[48:49], 2.0, -v[10:11]
	v_add_f64_e64 v[48:49], v[14:15], -v[46:47]
	v_fma_f64 v[50:51], v[50:51], 2.0, -v[52:53]
	v_fma_f64 v[88:89], v[86:87], s[14:15], v[70:71]
	v_add_f64_e64 v[92:93], v[58:59], -v[60:61]
	v_fma_f64 v[60:61], v[52:53], s[0:1], v[10:11]
	v_fma_f64 v[90:91], v[18:19], s[14:15], v[26:27]
	v_fma_f64 v[94:95], v[54:55], 2.0, -v[16:17]
	v_add_f64_e32 v[96:97], v[16:17], v[56:57]
	v_fma_f64 v[22:23], v[22:23], 2.0, -v[6:7]
	v_fma_f64 v[34:35], v[12:13], s[0:1], v[34:35]
	v_add_f64_e32 v[107:108], v[6:7], v[76:77]
	v_fma_f64 v[46:47], v[52:53], s[0:1], v[42:43]
	v_fma_f64 v[24:25], v[24:25], 2.0, -v[72:73]
	v_fma_f64 v[36:37], v[36:37], 2.0, -v[76:77]
	;; [unrolled: 1-line block ×3, first 2 shown]
	v_fma_f64 v[98:99], v[50:51], s[14:15], v[20:21]
	v_fma_f64 v[88:89], v[8:9], s[0:1], v[88:89]
	v_fma_f64 v[54:55], v[58:59], 2.0, -v[92:93]
	v_fma_f64 v[60:61], v[82:83], s[14:15], v[60:61]
	v_fma_f64 v[42:43], v[50:51], s[0:1], v[90:91]
	v_add_f64_e64 v[90:91], v[92:93], -v[48:49]
	v_fma_f64 v[16:17], v[16:17], 2.0, -v[96:97]
	v_fma_f64 v[104:105], v[78:79], 2.0, -v[34:35]
	;; [unrolled: 1-line block ×4, first 2 shown]
	v_add_f64_e64 v[24:25], v[94:95], -v[24:25]
	v_add_f64_e64 v[48:49], v[22:23], -v[14:15]
	v_fma_f64 v[76:77], v[18:19], s[14:15], v[98:99]
	v_mul_f64_e32 v[98:99], s[0:1], v[8:9]
	v_fma_f64 v[14:15], v[70:71], 2.0, -v[88:89]
	v_add_f64_e64 v[78:79], v[54:55], -v[36:37]
	v_fma_f64 v[80:81], v[10:11], 2.0, -v[60:61]
	v_fma_f64 v[50:51], v[26:27], 2.0, -v[42:43]
	v_fma_f64 v[10:11], v[107:108], s[0:1], v[96:97]
	v_fma_f64 v[26:27], v[46:47], s[12:13], v[34:35]
	v_fma_f64 v[18:19], v[92:93], 2.0, -v[90:91]
	v_fma_f64 v[70:71], v[6:7], s[14:15], v[16:17]
	s_wait_alu 0xfffe
	v_fma_f64 v[92:93], v[52:53], s[6:7], v[104:105]
	v_fma_f64 v[36:37], v[94:95], 2.0, -v[24:25]
	v_fma_f64 v[94:95], v[42:43], s[10:11], v[88:89]
	v_fma_f64 v[22:23], v[22:23], 2.0, -v[48:49]
	v_fma_f64 v[82:83], v[20:21], 2.0, -v[76:77]
	v_fma_f64 v[20:21], v[50:51], s[2:3], v[14:15]
	v_fma_f64 v[10:11], v[90:91], s[0:1], v[10:11]
	v_fma_f64 v[58:59], v[60:61], s[10:11], v[26:27]
	v_add_f64_e32 v[26:27], v[24:25], v[78:79]
	v_mul_f64_e32 v[90:91], s[0:1], v[90:91]
	v_fma_f64 v[70:71], v[18:19], s[0:1], v[70:71]
	v_fma_f64 v[109:110], v[80:81], s[12:13], v[92:93]
	v_mul_f64_e32 v[92:93], s[0:1], v[86:87]
	v_fma_f64 v[111:112], v[76:77], s[12:13], v[94:95]
	v_mul_f64_e32 v[94:95], s[0:1], v[84:85]
	v_add_f64_e64 v[22:23], v[36:37], -v[22:23]
	v_mul_f64_e32 v[86:87], s[0:1], v[107:108]
	v_mul_f64_e32 v[84:85], s[0:1], v[6:7]
	v_fma_f64 v[20:21], v[82:83], s[10:11], v[20:21]
	v_fma_f64 v[113:114], v[96:97], 2.0, -v[10:11]
	v_fma_f64 v[34:35], v[34:35], 2.0, -v[58:59]
	;; [unrolled: 1-line block ×3, first 2 shown]
	v_mul_f64_e32 v[96:97], s[0:1], v[12:13]
	v_fma_f64 v[16:17], v[16:17], 2.0, -v[70:71]
	v_fma_f64 v[125:126], v[104:105], 2.0, -v[109:110]
	v_add_nc_u32_e32 v104, 0x1400, v120
	v_fma_f64 v[127:128], v[88:89], 2.0, -v[111:112]
	v_mul_f64_e32 v[88:89], s[0:1], v[18:19]
	v_fma_f64 v[36:37], v[36:37], 2.0, -v[22:23]
	v_add_nc_u32_e32 v105, 0x2000, v120
	v_cmp_gt_u32_e64 s0, 25, v116
	v_fma_f64 v[14:15], v[14:15], 2.0, -v[20:21]
	ds_store_2addr_b64 v5, v[10:11], v[58:59] offset0:94 offset1:119
	ds_store_2addr_b64 v106, v[113:114], v[34:35] offset0:150 offset1:175
	;; [unrolled: 1-line block ×7, first 2 shown]
	ds_store_2addr_b64 v106, v[36:37], v[14:15] offset1:25
	global_wb scope:SCOPE_SE
	s_wait_dscnt 0x0
	s_barrier_signal -1
	s_barrier_wait -1
	global_inv scope:SCOPE_SE
	ds_load_b64 v[70:71], v121
	ds_load_2addr_b64 v[12:15], v102 offset0:144 offset1:219
	ds_load_2addr_b64 v[16:19], v104 offset0:60 offset1:160
	;; [unrolled: 1-line block ×7, first 2 shown]
	s_and_saveexec_b32 s1, s0
	s_cbranch_execz .LBB0_26
; %bb.25:
	ds_load_b64 v[58:59], v120 offset:3000
	ds_load_b64 v[62:63], v120 offset:6200
	;; [unrolled: 1-line block ×3, first 2 shown]
.LBB0_26:
	s_wait_alu 0xfffe
	s_or_b32 exec_lo, exec_lo, s1
	v_mul_f64_e32 v[2:3], v[2:3], v[32:33]
	v_fma_f64 v[0:1], v[40:41], 2.0, -v[0:1]
	v_fma_f64 v[28:29], v[28:29], 2.0, -v[56:57]
	v_fma_f64 v[54:55], v[54:55], 2.0, -v[78:79]
	global_wb scope:SCOPE_SE
	s_wait_dscnt 0x0
	s_barrier_signal -1
	s_barrier_wait -1
	global_inv scope:SCOPE_SE
	v_fma_f64 v[2:3], v[44:45], v[30:31], -v[2:3]
	s_delay_alu instid0(VALU_DEP_1) | instskip(NEXT) | instid1(VALU_DEP_1)
	v_add_f64_e64 v[2:3], v[74:75], -v[2:3]
	v_add_f64_e64 v[30:31], v[2:3], -v[38:39]
	v_fma_f64 v[32:33], v[74:75], 2.0, -v[2:3]
	s_delay_alu instid0(VALU_DEP_2) | instskip(NEXT) | instid1(VALU_DEP_2)
	v_fma_f64 v[2:3], v[2:3], 2.0, -v[30:31]
	v_add_f64_e64 v[0:1], v[32:33], -v[0:1]
	v_add_f64_e32 v[38:39], v[30:31], v[96:97]
	s_delay_alu instid0(VALU_DEP_3) | instskip(NEXT) | instid1(VALU_DEP_3)
	v_add_f64_e64 v[40:41], v[2:3], -v[98:99]
	v_add_f64_e64 v[44:45], v[0:1], -v[72:73]
	s_delay_alu instid0(VALU_DEP_3) | instskip(SKIP_1) | instid1(VALU_DEP_4)
	v_add_f64_e64 v[38:39], v[38:39], -v[94:95]
	v_fma_f64 v[32:33], v[32:33], 2.0, -v[0:1]
	v_add_f64_e64 v[40:41], v[40:41], -v[92:93]
	s_delay_alu instid0(VALU_DEP_4) | instskip(NEXT) | instid1(VALU_DEP_4)
	v_fma_f64 v[0:1], v[0:1], 2.0, -v[44:45]
	v_fma_f64 v[30:31], v[30:31], 2.0, -v[38:39]
	s_delay_alu instid0(VALU_DEP_4)
	v_add_f64_e64 v[28:29], v[32:33], -v[28:29]
	v_add_f64_e32 v[56:57], v[44:45], v[90:91]
	v_fma_f64 v[60:61], v[60:61], s[12:13], v[38:39]
	v_fma_f64 v[2:3], v[2:3], 2.0, -v[40:41]
	v_add_f64_e64 v[72:73], v[0:1], -v[88:89]
	v_fma_f64 v[74:75], v[80:81], s[6:7], v[30:31]
	v_fma_f64 v[76:77], v[76:77], s[10:11], v[40:41]
	v_fma_f64 v[78:79], v[32:33], 2.0, -v[28:29]
	v_add_f64_e64 v[56:57], v[56:57], -v[86:87]
	v_fma_f64 v[32:33], v[46:47], s[6:7], v[60:61]
	v_add_f64_e64 v[46:47], v[28:29], -v[48:49]
	v_fma_f64 v[80:81], v[82:83], s[2:3], v[2:3]
	;; [unrolled: 2-line block ×3, first 2 shown]
	v_fma_f64 v[42:43], v[42:43], s[2:3], v[76:77]
	v_add_f64_e64 v[54:55], v[78:79], -v[54:55]
	v_fma_f64 v[44:45], v[44:45], 2.0, -v[56:57]
	v_fma_f64 v[38:39], v[38:39], 2.0, -v[32:33]
	;; [unrolled: 1-line block ×3, first 2 shown]
	v_add_nc_u32_e32 v73, 0x800, v106
	v_add_nc_u32_e32 v74, 0x800, v120
	;; [unrolled: 1-line block ×6, first 2 shown]
	v_fma_f64 v[50:51], v[50:51], s[6:7], v[80:81]
	v_fma_f64 v[0:1], v[0:1], 2.0, -v[48:49]
	v_fma_f64 v[30:31], v[30:31], 2.0, -v[52:53]
	;; [unrolled: 1-line block ×5, first 2 shown]
	ds_store_2addr_b64 v73, v[56:57], v[32:33] offset0:94 offset1:119
	ds_store_2addr_b64 v106, v[44:45], v[38:39] offset0:150 offset1:175
	;; [unrolled: 1-line block ×7, first 2 shown]
	ds_store_2addr_b64 v106, v[60:61], v[2:3] offset1:25
	global_wb scope:SCOPE_SE
	s_wait_dscnt 0x0
	s_barrier_signal -1
	s_barrier_wait -1
	global_inv scope:SCOPE_SE
	ds_load_b64 v[72:73], v121
	ds_load_2addr_b64 v[38:41], v74 offset0:144 offset1:219
	ds_load_2addr_b64 v[42:45], v104 offset0:60 offset1:160
	;; [unrolled: 1-line block ×7, first 2 shown]
	s_and_saveexec_b32 s1, s0
	s_cbranch_execz .LBB0_28
; %bb.27:
	ds_load_b64 v[32:33], v120 offset:3000
	ds_load_b64 v[66:67], v120 offset:6200
	;; [unrolled: 1-line block ×3, first 2 shown]
.LBB0_28:
	s_wait_alu 0xfffe
	s_or_b32 exec_lo, exec_lo, s1
	s_and_saveexec_b32 s1, vcc_lo
	s_cbranch_execz .LBB0_31
; %bb.29:
	v_dual_mov_b32 v61, 0 :: v_dual_add_nc_u32 v122, 0x12c, v116
	s_mov_b32 s2, 0xe8584caa
	s_mov_b32 s3, 0xbfebb67a
	;; [unrolled: 1-line block ×3, first 2 shown]
	s_delay_alu instid0(VALU_DEP_1) | instskip(SKIP_2) | instid1(VALU_DEP_1)
	v_lshlrev_b32_e32 v60, 1, v122
	s_wait_alu 0xfffe
	s_mov_b32 s6, s2
	v_lshlrev_b64_e32 v[74:75], 4, v[60:61]
	v_lshlrev_b32_e32 v60, 1, v117
	s_delay_alu instid0(VALU_DEP_1) | instskip(SKIP_1) | instid1(VALU_DEP_4)
	v_lshlrev_b64_e32 v[76:77], 4, v[60:61]
	v_lshlrev_b32_e32 v60, 1, v123
	v_add_co_u32 v78, vcc_lo, s4, v74
	s_wait_alu 0xfffd
	v_add_co_ci_u32_e32 v79, vcc_lo, s5, v75, vcc_lo
	s_delay_alu instid0(VALU_DEP_3) | instskip(SKIP_4) | instid1(VALU_DEP_3)
	v_lshlrev_b64_e32 v[74:75], 4, v[60:61]
	v_lshlrev_b32_e32 v60, 1, v124
	v_add_co_u32 v86, vcc_lo, s4, v76
	s_wait_alu 0xfffd
	v_add_co_ci_u32_e32 v87, vcc_lo, s5, v77, vcc_lo
	v_lshlrev_b64_e32 v[98:99], 4, v[60:61]
	v_lshlrev_b32_e32 v60, 1, v116
	v_add_co_u32 v94, vcc_lo, s4, v74
	s_wait_alu 0xfffd
	v_add_co_ci_u32_e32 v95, vcc_lo, s5, v75, vcc_lo
	s_delay_alu instid0(VALU_DEP_3)
	v_lshlrev_b64_e32 v[100:101], 4, v[60:61]
	v_add_co_u32 v102, vcc_lo, s4, v98
	s_wait_alu 0xfffd
	v_add_co_ci_u32_e32 v103, vcc_lo, s5, v99, vcc_lo
	s_clause 0x3
	global_load_b128 v[74:77], v[78:79], off offset:6336
	global_load_b128 v[78:81], v[78:79], off offset:6320
	;; [unrolled: 1-line block ×4, first 2 shown]
	v_add_co_u32 v110, vcc_lo, s4, v100
	s_wait_alu 0xfffd
	v_add_co_ci_u32_e32 v111, vcc_lo, s5, v101, vcc_lo
	s_clause 0x5
	global_load_b128 v[90:93], v[94:95], off offset:6336
	global_load_b128 v[94:97], v[94:95], off offset:6320
	;; [unrolled: 1-line block ×6, first 2 shown]
	s_wait_loadcnt 0x9
	v_mul_f64_e32 v[120:121], v[26:27], v[76:77]
	s_wait_loadcnt 0x8
	v_mul_f64_e32 v[114:115], v[16:17], v[80:81]
	s_wait_dscnt 0x5
	v_mul_f64_e32 v[80:81], v[42:43], v[80:81]
	s_wait_dscnt 0x0
	v_mul_f64_e32 v[76:77], v[56:57], v[76:77]
	s_wait_loadcnt 0x6
	v_mul_f64_e32 v[124:125], v[22:23], v[88:89]
	v_mul_f64_e32 v[126:127], v[24:25], v[84:85]
	s_wait_loadcnt 0x3
	v_mul_f64_e32 v[132:133], v[14:15], v[100:101]
	v_mul_f64_e32 v[130:131], v[36:37], v[92:93]
	;; [unrolled: 1-line block ×5, first 2 shown]
	s_wait_loadcnt 0x2
	v_mul_f64_e32 v[134:135], v[34:35], v[104:105]
	s_wait_loadcnt 0x1
	v_mul_f64_e32 v[136:137], v[12:13], v[108:109]
	;; [unrolled: 2-line block ×3, first 2 shown]
	v_mul_f64_e32 v[108:109], v[38:39], v[108:109]
	v_mul_f64_e32 v[112:113], v[44:45], v[112:113]
	;; [unrolled: 1-line block ×6, first 2 shown]
	v_fma_f64 v[56:57], v[56:57], v[74:75], -v[120:121]
	v_fma_f64 v[42:43], v[42:43], v[78:79], -v[114:115]
	v_fma_f64 v[16:17], v[16:17], v[78:79], v[80:81]
	v_fma_f64 v[26:27], v[26:27], v[74:75], v[76:77]
	v_fma_f64 v[52:53], v[52:53], v[86:87], -v[124:125]
	v_fma_f64 v[54:55], v[54:55], v[82:83], -v[126:127]
	;; [unrolled: 1-line block ×5, first 2 shown]
	v_fma_f64 v[20:21], v[20:21], v[94:95], v[96:97]
	v_fma_f64 v[36:37], v[36:37], v[90:91], v[92:93]
	v_fma_f64 v[46:47], v[46:47], v[102:103], -v[134:135]
	v_fma_f64 v[38:39], v[38:39], v[106:107], -v[136:137]
	;; [unrolled: 1-line block ×3, first 2 shown]
	v_fma_f64 v[12:13], v[12:13], v[106:107], v[108:109]
	v_fma_f64 v[18:19], v[18:19], v[110:111], v[112:113]
	;; [unrolled: 1-line block ×6, first 2 shown]
	v_mul_hi_u32 v114, 0x51eb851f, v122
	v_add_f64_e32 v[74:75], v[42:43], v[56:57]
	v_add_f64_e32 v[96:97], v[30:31], v[42:43]
	;; [unrolled: 1-line block ×3, first 2 shown]
	v_add_f64_e64 v[94:95], v[16:17], -v[26:27]
	v_add_f64_e32 v[78:79], v[52:53], v[54:55]
	v_add_f64_e32 v[16:17], v[6:7], v[16:17]
	;; [unrolled: 1-line block ×7, first 2 shown]
	v_add_f64_e64 v[102:103], v[20:21], -v[36:37]
	v_add_f64_e32 v[88:89], v[38:39], v[44:45]
	v_add_f64_e32 v[20:21], v[10:11], v[20:21]
	;; [unrolled: 1-line block ×7, first 2 shown]
	v_add_f64_e64 v[106:107], v[50:51], -v[48:49]
	v_add_f64_e64 v[50:51], v[14:15], -v[34:35]
	v_add_f64_e32 v[14:15], v[8:9], v[14:15]
	v_add_f64_e64 v[42:43], v[42:43], -v[56:57]
	v_add_f64_e64 v[98:99], v[22:23], -v[24:25]
	v_add_f64_e32 v[22:23], v[4:5], v[22:23]
	v_add_f64_e32 v[100:101], v[28:29], v[52:53]
	v_fma_f64 v[30:31], v[74:75], -0.5, v[30:31]
	v_add_f64_e64 v[74:75], v[40:41], -v[46:47]
	v_fma_f64 v[40:41], v[76:77], -0.5, v[6:7]
	v_add_f64_e64 v[76:77], v[12:13], -v[18:19]
	v_fma_f64 v[78:79], v[78:79], -0.5, v[28:29]
	v_fma_f64 v[80:81], v[80:81], -0.5, v[2:3]
	v_mul_hi_u32 v2, 0x51eb851f, v123
	v_fma_f64 v[82:83], v[82:83], -0.5, v[10:11]
	v_fma_f64 v[0:1], v[84:85], -0.5, v[0:1]
	v_add_f64_e64 v[84:85], v[38:39], -v[44:45]
	v_fma_f64 v[72:73], v[88:89], -0.5, v[72:73]
	v_add_f64_e64 v[88:89], v[52:53], -v[54:55]
	v_fma_f64 v[70:71], v[90:91], -0.5, v[70:71]
	v_mul_hi_u32 v3, 0x51eb851f, v117
	v_mov_b32_e32 v117, v61
	v_fma_f64 v[86:87], v[86:87], -0.5, v[8:9]
	v_fma_f64 v[90:91], v[92:93], -0.5, v[4:5]
	v_lshrrev_b32_e32 v2, 7, v2
	v_add_f64_e32 v[10:11], v[20:21], v[36:37]
	v_add_f64_e32 v[20:21], v[110:111], v[44:45]
	;; [unrolled: 1-line block ×3, first 2 shown]
	v_lshrrev_b32_e32 v115, 7, v3
	v_mul_u32_u24_e32 v60, 0x320, v2
	v_add_f64_e32 v[2:3], v[16:17], v[26:27]
	v_add_f64_e32 v[16:17], v[108:109], v[46:47]
	v_add_f64_e32 v[14:15], v[14:15], v[34:35]
	v_add_f64_e32 v[6:7], v[22:23], v[24:25]
	v_add_f64_e32 v[12:13], v[104:105], v[48:49]
	v_add_f64_e32 v[4:5], v[96:97], v[56:57]
	v_add_f64_e32 v[8:9], v[100:101], v[54:55]
	v_lshlrev_b64_e32 v[92:93], 4, v[116:117]
	s_wait_alu 0xfffe
	v_fma_f64 v[28:29], v[94:95], s[6:7], v[30:31]
	v_fma_f64 v[24:25], v[94:95], s[2:3], v[30:31]
	;; [unrolled: 1-line block ×5, first 2 shown]
	v_lshlrev_b64_e32 v[30:31], 4, v[60:61]
	v_mul_u32_u24_e32 v60, 0x320, v115
	v_fma_f64 v[40:41], v[102:103], s[2:3], v[80:81]
	v_fma_f64 v[38:39], v[106:107], s[6:7], v[82:83]
	;; [unrolled: 1-line block ×15, first 2 shown]
	v_add_co_u32 v0, vcc_lo, s8, v118
	v_lshrrev_b32_e32 v80, 7, v114
	s_wait_alu 0xfffd
	v_add_co_ci_u32_e32 v1, vcc_lo, s9, v119, vcc_lo
	s_delay_alu instid0(VALU_DEP_3)
	v_add_co_u32 v0, vcc_lo, v0, v92
	v_lshlrev_b64_e32 v[78:79], 4, v[60:61]
	v_mul_u32_u24_e32 v60, 0x320, v80
	s_wait_alu 0xfffd
	v_add_co_ci_u32_e32 v1, vcc_lo, v1, v93, vcc_lo
	v_add_co_u32 v30, vcc_lo, v0, v30
	s_delay_alu instid0(VALU_DEP_3) | instskip(SKIP_1) | instid1(VALU_DEP_3)
	v_lshlrev_b64_e32 v[80:81], 4, v[60:61]
	s_wait_alu 0xfffd
	v_add_co_ci_u32_e32 v31, vcc_lo, v1, v31, vcc_lo
	v_add_co_u32 v78, vcc_lo, v0, v78
	s_wait_alu 0xfffd
	v_add_co_ci_u32_e32 v79, vcc_lo, v1, v79, vcc_lo
	v_add_co_u32 v80, vcc_lo, v0, v80
	s_wait_alu 0xfffd
	v_add_co_ci_u32_e32 v81, vcc_lo, v1, v81, vcc_lo
	s_clause 0xe
	global_store_b128 v[0:1], v[18:21], off
	global_store_b128 v[0:1], v[14:17], off offset:1200
	global_store_b128 v[30:31], v[38:41], off offset:15200
	;; [unrolled: 1-line block ×14, first 2 shown]
	s_and_b32 exec_lo, exec_lo, s0
	s_cbranch_execz .LBB0_31
; %bb.30:
	v_mov_b32_e32 v2, 0x177
	s_delay_alu instid0(VALU_DEP_1) | instskip(NEXT) | instid1(VALU_DEP_1)
	v_cndmask_b32_e64 v2, 0xffffffe7, v2, s0
	v_add_lshl_u32 v60, v116, v2, 1
	s_delay_alu instid0(VALU_DEP_1) | instskip(NEXT) | instid1(VALU_DEP_1)
	v_lshlrev_b64_e32 v[2:3], 4, v[60:61]
	v_add_co_u32 v6, vcc_lo, s4, v2
	s_wait_alu 0xfffd
	s_delay_alu instid0(VALU_DEP_2)
	v_add_co_ci_u32_e32 v7, vcc_lo, s5, v3, vcc_lo
	s_clause 0x1
	global_load_b128 v[2:5], v[6:7], off offset:6320
	global_load_b128 v[6:9], v[6:7], off offset:6336
	s_wait_loadcnt 0x1
	v_mul_f64_e32 v[10:11], v[66:67], v[4:5]
	s_wait_loadcnt 0x0
	v_mul_f64_e32 v[12:13], v[68:69], v[8:9]
	v_mul_f64_e32 v[4:5], v[62:63], v[4:5]
	;; [unrolled: 1-line block ×3, first 2 shown]
	s_delay_alu instid0(VALU_DEP_4) | instskip(NEXT) | instid1(VALU_DEP_4)
	v_fma_f64 v[10:11], v[62:63], v[2:3], v[10:11]
	v_fma_f64 v[12:13], v[64:65], v[6:7], v[12:13]
	s_delay_alu instid0(VALU_DEP_4) | instskip(NEXT) | instid1(VALU_DEP_4)
	v_fma_f64 v[2:3], v[66:67], v[2:3], -v[4:5]
	v_fma_f64 v[4:5], v[68:69], v[6:7], -v[8:9]
	s_delay_alu instid0(VALU_DEP_4) | instskip(NEXT) | instid1(VALU_DEP_4)
	v_add_f64_e32 v[14:15], v[58:59], v[10:11]
	v_add_f64_e32 v[6:7], v[10:11], v[12:13]
	s_delay_alu instid0(VALU_DEP_4) | instskip(NEXT) | instid1(VALU_DEP_4)
	v_add_f64_e32 v[18:19], v[32:33], v[2:3]
	v_add_f64_e32 v[8:9], v[2:3], v[4:5]
	v_add_f64_e64 v[16:17], v[2:3], -v[4:5]
	v_add_f64_e64 v[22:23], v[10:11], -v[12:13]
	v_add_f64_e32 v[2:3], v[14:15], v[12:13]
	v_fma_f64 v[20:21], v[6:7], -0.5, v[58:59]
	v_add_f64_e32 v[4:5], v[18:19], v[4:5]
	v_fma_f64 v[24:25], v[8:9], -0.5, v[32:33]
	s_delay_alu instid0(VALU_DEP_3) | instskip(SKIP_1) | instid1(VALU_DEP_3)
	v_fma_f64 v[6:7], v[16:17], s[2:3], v[20:21]
	v_fma_f64 v[10:11], v[16:17], s[6:7], v[20:21]
	;; [unrolled: 1-line block ×4, first 2 shown]
	s_clause 0x2
	global_store_b128 v[0:1], v[2:5], off offset:6000
	global_store_b128 v[0:1], v[6:9], off offset:12400
	;; [unrolled: 1-line block ×3, first 2 shown]
.LBB0_31:
	s_nop 0
	s_sendmsg sendmsg(MSG_DEALLOC_VGPRS)
	s_endpgm
	.section	.rodata,"a",@progbits
	.p2align	6, 0x0
	.amdhsa_kernel fft_rtc_back_len1200_factors_5_5_16_3_wgs_225_tpt_75_halfLds_dp_ip_CI_unitstride_sbrr_dirReg
		.amdhsa_group_segment_fixed_size 0
		.amdhsa_private_segment_fixed_size 0
		.amdhsa_kernarg_size 88
		.amdhsa_user_sgpr_count 2
		.amdhsa_user_sgpr_dispatch_ptr 0
		.amdhsa_user_sgpr_queue_ptr 0
		.amdhsa_user_sgpr_kernarg_segment_ptr 1
		.amdhsa_user_sgpr_dispatch_id 0
		.amdhsa_user_sgpr_private_segment_size 0
		.amdhsa_wavefront_size32 1
		.amdhsa_uses_dynamic_stack 0
		.amdhsa_enable_private_segment 0
		.amdhsa_system_sgpr_workgroup_id_x 1
		.amdhsa_system_sgpr_workgroup_id_y 0
		.amdhsa_system_sgpr_workgroup_id_z 0
		.amdhsa_system_sgpr_workgroup_info 0
		.amdhsa_system_vgpr_workitem_id 0
		.amdhsa_next_free_vgpr 179
		.amdhsa_next_free_sgpr 32
		.amdhsa_reserve_vcc 1
		.amdhsa_float_round_mode_32 0
		.amdhsa_float_round_mode_16_64 0
		.amdhsa_float_denorm_mode_32 3
		.amdhsa_float_denorm_mode_16_64 3
		.amdhsa_fp16_overflow 0
		.amdhsa_workgroup_processor_mode 1
		.amdhsa_memory_ordered 1
		.amdhsa_forward_progress 0
		.amdhsa_round_robin_scheduling 0
		.amdhsa_exception_fp_ieee_invalid_op 0
		.amdhsa_exception_fp_denorm_src 0
		.amdhsa_exception_fp_ieee_div_zero 0
		.amdhsa_exception_fp_ieee_overflow 0
		.amdhsa_exception_fp_ieee_underflow 0
		.amdhsa_exception_fp_ieee_inexact 0
		.amdhsa_exception_int_div_zero 0
	.end_amdhsa_kernel
	.text
.Lfunc_end0:
	.size	fft_rtc_back_len1200_factors_5_5_16_3_wgs_225_tpt_75_halfLds_dp_ip_CI_unitstride_sbrr_dirReg, .Lfunc_end0-fft_rtc_back_len1200_factors_5_5_16_3_wgs_225_tpt_75_halfLds_dp_ip_CI_unitstride_sbrr_dirReg
                                        ; -- End function
	.section	.AMDGPU.csdata,"",@progbits
; Kernel info:
; codeLenInByte = 11676
; NumSgprs: 34
; NumVgprs: 179
; ScratchSize: 0
; MemoryBound: 1
; FloatMode: 240
; IeeeMode: 1
; LDSByteSize: 0 bytes/workgroup (compile time only)
; SGPRBlocks: 4
; VGPRBlocks: 22
; NumSGPRsForWavesPerEU: 34
; NumVGPRsForWavesPerEU: 179
; Occupancy: 8
; WaveLimiterHint : 1
; COMPUTE_PGM_RSRC2:SCRATCH_EN: 0
; COMPUTE_PGM_RSRC2:USER_SGPR: 2
; COMPUTE_PGM_RSRC2:TRAP_HANDLER: 0
; COMPUTE_PGM_RSRC2:TGID_X_EN: 1
; COMPUTE_PGM_RSRC2:TGID_Y_EN: 0
; COMPUTE_PGM_RSRC2:TGID_Z_EN: 0
; COMPUTE_PGM_RSRC2:TIDIG_COMP_CNT: 0
	.text
	.p2alignl 7, 3214868480
	.fill 96, 4, 3214868480
	.type	__hip_cuid_57980339d22186f7,@object ; @__hip_cuid_57980339d22186f7
	.section	.bss,"aw",@nobits
	.globl	__hip_cuid_57980339d22186f7
__hip_cuid_57980339d22186f7:
	.byte	0                               ; 0x0
	.size	__hip_cuid_57980339d22186f7, 1

	.ident	"AMD clang version 19.0.0git (https://github.com/RadeonOpenCompute/llvm-project roc-6.4.0 25133 c7fe45cf4b819c5991fe208aaa96edf142730f1d)"
	.section	".note.GNU-stack","",@progbits
	.addrsig
	.addrsig_sym __hip_cuid_57980339d22186f7
	.amdgpu_metadata
---
amdhsa.kernels:
  - .args:
      - .actual_access:  read_only
        .address_space:  global
        .offset:         0
        .size:           8
        .value_kind:     global_buffer
      - .offset:         8
        .size:           8
        .value_kind:     by_value
      - .actual_access:  read_only
        .address_space:  global
        .offset:         16
        .size:           8
        .value_kind:     global_buffer
      - .actual_access:  read_only
        .address_space:  global
        .offset:         24
        .size:           8
        .value_kind:     global_buffer
      - .offset:         32
        .size:           8
        .value_kind:     by_value
      - .actual_access:  read_only
        .address_space:  global
        .offset:         40
        .size:           8
        .value_kind:     global_buffer
      - .actual_access:  read_only
        .address_space:  global
        .offset:         48
        .size:           8
        .value_kind:     global_buffer
      - .offset:         56
        .size:           4
        .value_kind:     by_value
      - .actual_access:  read_only
        .address_space:  global
        .offset:         64
        .size:           8
        .value_kind:     global_buffer
      - .actual_access:  read_only
        .address_space:  global
        .offset:         72
        .size:           8
        .value_kind:     global_buffer
      - .address_space:  global
        .offset:         80
        .size:           8
        .value_kind:     global_buffer
    .group_segment_fixed_size: 0
    .kernarg_segment_align: 8
    .kernarg_segment_size: 88
    .language:       OpenCL C
    .language_version:
      - 2
      - 0
    .max_flat_workgroup_size: 225
    .name:           fft_rtc_back_len1200_factors_5_5_16_3_wgs_225_tpt_75_halfLds_dp_ip_CI_unitstride_sbrr_dirReg
    .private_segment_fixed_size: 0
    .sgpr_count:     34
    .sgpr_spill_count: 0
    .symbol:         fft_rtc_back_len1200_factors_5_5_16_3_wgs_225_tpt_75_halfLds_dp_ip_CI_unitstride_sbrr_dirReg.kd
    .uniform_work_group_size: 1
    .uses_dynamic_stack: false
    .vgpr_count:     179
    .vgpr_spill_count: 0
    .wavefront_size: 32
    .workgroup_processor_mode: 1
amdhsa.target:   amdgcn-amd-amdhsa--gfx1201
amdhsa.version:
  - 1
  - 2
...

	.end_amdgpu_metadata
